;; amdgpu-corpus repo=ROCm/rocFFT kind=compiled arch=gfx906 opt=O3
	.text
	.amdgcn_target "amdgcn-amd-amdhsa--gfx906"
	.amdhsa_code_object_version 6
	.protected	fft_rtc_back_len3456_factors_6_6_6_4_4_wgs_144_tpt_144_halfLds_half_ip_CI_sbrr_dirReg ; -- Begin function fft_rtc_back_len3456_factors_6_6_6_4_4_wgs_144_tpt_144_halfLds_half_ip_CI_sbrr_dirReg
	.globl	fft_rtc_back_len3456_factors_6_6_6_4_4_wgs_144_tpt_144_halfLds_half_ip_CI_sbrr_dirReg
	.p2align	8
	.type	fft_rtc_back_len3456_factors_6_6_6_4_4_wgs_144_tpt_144_halfLds_half_ip_CI_sbrr_dirReg,@function
fft_rtc_back_len3456_factors_6_6_6_4_4_wgs_144_tpt_144_halfLds_half_ip_CI_sbrr_dirReg: ; @fft_rtc_back_len3456_factors_6_6_6_4_4_wgs_144_tpt_144_halfLds_half_ip_CI_sbrr_dirReg
; %bb.0:
	s_load_dwordx2 s[14:15], s[4:5], 0x18
	s_load_dwordx4 s[8:11], s[4:5], 0x0
	s_load_dwordx2 s[12:13], s[4:5], 0x50
	v_mul_u32_u24_e32 v1, 0x1c8, v0
	v_add_u32_sdwa v5, s6, v1 dst_sel:DWORD dst_unused:UNUSED_PAD src0_sel:DWORD src1_sel:WORD_1
	s_waitcnt lgkmcnt(0)
	s_load_dwordx2 s[2:3], s[14:15], 0x0
	v_cmp_lt_u64_e64 s[0:1], s[10:11], 2
	v_mov_b32_e32 v3, 0
	v_mov_b32_e32 v1, 0
	;; [unrolled: 1-line block ×3, first 2 shown]
	s_and_b64 vcc, exec, s[0:1]
	v_mov_b32_e32 v2, 0
	s_cbranch_vccnz .LBB0_8
; %bb.1:
	s_load_dwordx2 s[0:1], s[4:5], 0x10
	s_add_u32 s6, s14, 8
	s_addc_u32 s7, s15, 0
	v_mov_b32_e32 v1, 0
	v_mov_b32_e32 v2, 0
	s_waitcnt lgkmcnt(0)
	s_add_u32 s16, s0, 8
	s_addc_u32 s17, s1, 0
	s_mov_b64 s[18:19], 1
.LBB0_2:                                ; =>This Inner Loop Header: Depth=1
	s_load_dwordx2 s[20:21], s[16:17], 0x0
                                        ; implicit-def: $vgpr7_vgpr8
	s_waitcnt lgkmcnt(0)
	v_or_b32_e32 v4, s21, v6
	v_cmp_ne_u64_e32 vcc, 0, v[3:4]
	s_and_saveexec_b64 s[0:1], vcc
	s_xor_b64 s[22:23], exec, s[0:1]
	s_cbranch_execz .LBB0_4
; %bb.3:                                ;   in Loop: Header=BB0_2 Depth=1
	v_cvt_f32_u32_e32 v4, s20
	v_cvt_f32_u32_e32 v7, s21
	s_sub_u32 s0, 0, s20
	s_subb_u32 s1, 0, s21
	v_mac_f32_e32 v4, 0x4f800000, v7
	v_rcp_f32_e32 v4, v4
	v_mul_f32_e32 v4, 0x5f7ffffc, v4
	v_mul_f32_e32 v7, 0x2f800000, v4
	v_trunc_f32_e32 v7, v7
	v_mac_f32_e32 v4, 0xcf800000, v7
	v_cvt_u32_f32_e32 v7, v7
	v_cvt_u32_f32_e32 v4, v4
	v_mul_lo_u32 v8, s0, v7
	v_mul_hi_u32 v9, s0, v4
	v_mul_lo_u32 v11, s1, v4
	v_mul_lo_u32 v10, s0, v4
	v_add_u32_e32 v8, v9, v8
	v_add_u32_e32 v8, v8, v11
	v_mul_hi_u32 v9, v4, v10
	v_mul_lo_u32 v11, v4, v8
	v_mul_hi_u32 v13, v4, v8
	v_mul_hi_u32 v12, v7, v10
	v_mul_lo_u32 v10, v7, v10
	v_mul_hi_u32 v14, v7, v8
	v_add_co_u32_e32 v9, vcc, v9, v11
	v_addc_co_u32_e32 v11, vcc, 0, v13, vcc
	v_mul_lo_u32 v8, v7, v8
	v_add_co_u32_e32 v9, vcc, v9, v10
	v_addc_co_u32_e32 v9, vcc, v11, v12, vcc
	v_addc_co_u32_e32 v10, vcc, 0, v14, vcc
	v_add_co_u32_e32 v8, vcc, v9, v8
	v_addc_co_u32_e32 v9, vcc, 0, v10, vcc
	v_add_co_u32_e32 v4, vcc, v4, v8
	v_addc_co_u32_e32 v7, vcc, v7, v9, vcc
	v_mul_lo_u32 v8, s0, v7
	v_mul_hi_u32 v9, s0, v4
	v_mul_lo_u32 v10, s1, v4
	v_mul_lo_u32 v11, s0, v4
	v_add_u32_e32 v8, v9, v8
	v_add_u32_e32 v8, v8, v10
	v_mul_lo_u32 v12, v4, v8
	v_mul_hi_u32 v13, v4, v11
	v_mul_hi_u32 v14, v4, v8
	;; [unrolled: 1-line block ×3, first 2 shown]
	v_mul_lo_u32 v11, v7, v11
	v_mul_hi_u32 v9, v7, v8
	v_add_co_u32_e32 v12, vcc, v13, v12
	v_addc_co_u32_e32 v13, vcc, 0, v14, vcc
	v_mul_lo_u32 v8, v7, v8
	v_add_co_u32_e32 v11, vcc, v12, v11
	v_addc_co_u32_e32 v10, vcc, v13, v10, vcc
	v_addc_co_u32_e32 v9, vcc, 0, v9, vcc
	v_add_co_u32_e32 v8, vcc, v10, v8
	v_addc_co_u32_e32 v9, vcc, 0, v9, vcc
	v_add_co_u32_e32 v4, vcc, v4, v8
	v_addc_co_u32_e32 v9, vcc, v7, v9, vcc
	v_mad_u64_u32 v[7:8], s[0:1], v5, v9, 0
	v_mul_hi_u32 v10, v5, v4
	v_add_co_u32_e32 v11, vcc, v10, v7
	v_addc_co_u32_e32 v12, vcc, 0, v8, vcc
	v_mad_u64_u32 v[7:8], s[0:1], v6, v4, 0
	v_mad_u64_u32 v[9:10], s[0:1], v6, v9, 0
	v_add_co_u32_e32 v4, vcc, v11, v7
	v_addc_co_u32_e32 v4, vcc, v12, v8, vcc
	v_addc_co_u32_e32 v7, vcc, 0, v10, vcc
	v_add_co_u32_e32 v4, vcc, v4, v9
	v_addc_co_u32_e32 v9, vcc, 0, v7, vcc
	v_mul_lo_u32 v10, s21, v4
	v_mul_lo_u32 v11, s20, v9
	v_mad_u64_u32 v[7:8], s[0:1], s20, v4, 0
	v_add3_u32 v8, v8, v11, v10
	v_sub_u32_e32 v10, v6, v8
	v_mov_b32_e32 v11, s21
	v_sub_co_u32_e32 v7, vcc, v5, v7
	v_subb_co_u32_e64 v10, s[0:1], v10, v11, vcc
	v_subrev_co_u32_e64 v11, s[0:1], s20, v7
	v_subbrev_co_u32_e64 v10, s[0:1], 0, v10, s[0:1]
	v_cmp_le_u32_e64 s[0:1], s21, v10
	v_cndmask_b32_e64 v12, 0, -1, s[0:1]
	v_cmp_le_u32_e64 s[0:1], s20, v11
	v_cndmask_b32_e64 v11, 0, -1, s[0:1]
	v_cmp_eq_u32_e64 s[0:1], s21, v10
	v_cndmask_b32_e64 v10, v12, v11, s[0:1]
	v_add_co_u32_e64 v11, s[0:1], 2, v4
	v_addc_co_u32_e64 v12, s[0:1], 0, v9, s[0:1]
	v_add_co_u32_e64 v13, s[0:1], 1, v4
	v_addc_co_u32_e64 v14, s[0:1], 0, v9, s[0:1]
	v_subb_co_u32_e32 v8, vcc, v6, v8, vcc
	v_cmp_ne_u32_e64 s[0:1], 0, v10
	v_cmp_le_u32_e32 vcc, s21, v8
	v_cndmask_b32_e64 v10, v14, v12, s[0:1]
	v_cndmask_b32_e64 v12, 0, -1, vcc
	v_cmp_le_u32_e32 vcc, s20, v7
	v_cndmask_b32_e64 v7, 0, -1, vcc
	v_cmp_eq_u32_e32 vcc, s21, v8
	v_cndmask_b32_e32 v7, v12, v7, vcc
	v_cmp_ne_u32_e32 vcc, 0, v7
	v_cndmask_b32_e64 v7, v13, v11, s[0:1]
	v_cndmask_b32_e32 v8, v9, v10, vcc
	v_cndmask_b32_e32 v7, v4, v7, vcc
.LBB0_4:                                ;   in Loop: Header=BB0_2 Depth=1
	s_andn2_saveexec_b64 s[0:1], s[22:23]
	s_cbranch_execz .LBB0_6
; %bb.5:                                ;   in Loop: Header=BB0_2 Depth=1
	v_cvt_f32_u32_e32 v4, s20
	s_sub_i32 s22, 0, s20
	v_rcp_iflag_f32_e32 v4, v4
	v_mul_f32_e32 v4, 0x4f7ffffe, v4
	v_cvt_u32_f32_e32 v4, v4
	v_mul_lo_u32 v7, s22, v4
	v_mul_hi_u32 v7, v4, v7
	v_add_u32_e32 v4, v4, v7
	v_mul_hi_u32 v4, v5, v4
	v_mul_lo_u32 v7, v4, s20
	v_add_u32_e32 v8, 1, v4
	v_sub_u32_e32 v7, v5, v7
	v_subrev_u32_e32 v9, s20, v7
	v_cmp_le_u32_e32 vcc, s20, v7
	v_cndmask_b32_e32 v7, v7, v9, vcc
	v_cndmask_b32_e32 v4, v4, v8, vcc
	v_add_u32_e32 v8, 1, v4
	v_cmp_le_u32_e32 vcc, s20, v7
	v_cndmask_b32_e32 v7, v4, v8, vcc
	v_mov_b32_e32 v8, v3
.LBB0_6:                                ;   in Loop: Header=BB0_2 Depth=1
	s_or_b64 exec, exec, s[0:1]
	v_mul_lo_u32 v4, v8, s20
	v_mul_lo_u32 v11, v7, s21
	v_mad_u64_u32 v[9:10], s[0:1], v7, s20, 0
	s_load_dwordx2 s[0:1], s[6:7], 0x0
	s_add_u32 s18, s18, 1
	v_add3_u32 v4, v10, v11, v4
	v_sub_co_u32_e32 v5, vcc, v5, v9
	v_subb_co_u32_e32 v4, vcc, v6, v4, vcc
	s_waitcnt lgkmcnt(0)
	v_mul_lo_u32 v4, s0, v4
	v_mul_lo_u32 v6, s1, v5
	v_mad_u64_u32 v[1:2], s[0:1], s0, v5, v[1:2]
	s_addc_u32 s19, s19, 0
	s_add_u32 s6, s6, 8
	v_add3_u32 v2, v6, v2, v4
	v_mov_b32_e32 v4, s10
	v_mov_b32_e32 v5, s11
	s_addc_u32 s7, s7, 0
	v_cmp_ge_u64_e32 vcc, s[18:19], v[4:5]
	s_add_u32 s16, s16, 8
	s_addc_u32 s17, s17, 0
	s_cbranch_vccnz .LBB0_9
; %bb.7:                                ;   in Loop: Header=BB0_2 Depth=1
	v_mov_b32_e32 v5, v7
	v_mov_b32_e32 v6, v8
	s_branch .LBB0_2
.LBB0_8:
	v_mov_b32_e32 v8, v6
	v_mov_b32_e32 v7, v5
.LBB0_9:
	s_lshl_b64 s[0:1], s[10:11], 3
	s_add_u32 s0, s14, s0
	s_addc_u32 s1, s15, s1
	s_load_dwordx2 s[6:7], s[0:1], 0x0
	s_load_dwordx2 s[10:11], s[4:5], 0x20
                                        ; implicit-def: $vgpr9
                                        ; implicit-def: $vgpr6
	s_waitcnt lgkmcnt(0)
	v_mad_u64_u32 v[1:2], s[0:1], s6, v7, v[1:2]
	s_mov_b32 s0, 0x1c71c72
	v_mul_lo_u32 v3, s6, v8
	v_mul_lo_u32 v4, s7, v7
	v_mul_hi_u32 v5, v0, s0
	v_cmp_gt_u64_e32 vcc, s[10:11], v[7:8]
	v_cmp_le_u64_e64 s[0:1], s[10:11], v[7:8]
	v_add3_u32 v2, v4, v2, v3
	v_mul_u32_u24_e32 v3, 0x90, v5
	v_sub_u32_e32 v4, v0, v3
                                        ; implicit-def: $vgpr5
                                        ; implicit-def: $vgpr7
                                        ; implicit-def: $vgpr8
	s_and_saveexec_b64 s[4:5], s[0:1]
	s_xor_b64 s[0:1], exec, s[4:5]
; %bb.10:
	v_add_u32_e32 v5, 0x90, v4
	v_add_u32_e32 v7, 0x120, v4
	;; [unrolled: 1-line block ×5, first 2 shown]
; %bb.11:
	s_or_saveexec_b64 s[4:5], s[0:1]
	v_lshlrev_b64 v[0:1], 2, v[1:2]
                                        ; implicit-def: $vgpr41
                                        ; implicit-def: $vgpr15
                                        ; implicit-def: $vgpr20
                                        ; implicit-def: $vgpr12
                                        ; implicit-def: $vgpr43
                                        ; implicit-def: $vgpr13
                                        ; implicit-def: $vgpr22
                                        ; implicit-def: $vgpr10
                                        ; implicit-def: $vgpr44
                                        ; implicit-def: $vgpr14
                                        ; implicit-def: $vgpr40
                                        ; implicit-def: $vgpr11
                                        ; implicit-def: $vgpr52
                                        ; implicit-def: $vgpr3
                                        ; implicit-def: $vgpr27
                                        ; implicit-def: $vgpr2
                                        ; implicit-def: $vgpr54
                                        ; implicit-def: $vgpr24
                                        ; implicit-def: $vgpr29
                                        ; implicit-def: $vgpr19
                                        ; implicit-def: $vgpr55
                                        ; implicit-def: $vgpr25
                                        ; implicit-def: $vgpr53
                                        ; implicit-def: $vgpr23
                                        ; implicit-def: $vgpr32
                                        ; implicit-def: $vgpr21
                                        ; implicit-def: $vgpr30
                                        ; implicit-def: $vgpr17
                                        ; implicit-def: $vgpr50
                                        ; implicit-def: $vgpr18
                                        ; implicit-def: $vgpr31
                                        ; implicit-def: $vgpr16
                                        ; implicit-def: $vgpr51
                                        ; implicit-def: $vgpr28
                                        ; implicit-def: $vgpr49
                                        ; implicit-def: $vgpr26
                                        ; implicit-def: $vgpr45
                                        ; implicit-def: $vgpr37
                                        ; implicit-def: $vgpr39
                                        ; implicit-def: $vgpr34
                                        ; implicit-def: $vgpr47
                                        ; implicit-def: $vgpr36
                                        ; implicit-def: $vgpr42
                                        ; implicit-def: $vgpr33
                                        ; implicit-def: $vgpr48
                                        ; implicit-def: $vgpr38
                                        ; implicit-def: $vgpr46
                                        ; implicit-def: $vgpr35
	s_xor_b64 exec, exec, s[4:5]
	s_cbranch_execz .LBB0_13
; %bb.12:
	v_mad_u64_u32 v[2:3], s[0:1], s2, v4, 0
	v_mov_b32_e32 v9, s13
	v_add_u32_e32 v11, 0x480, v4
	v_mad_u64_u32 v[5:6], s[0:1], s3, v4, v[3:4]
	v_add_u32_e32 v6, 0x240, v4
	v_mad_u64_u32 v[7:8], s[0:1], s2, v6, 0
	v_mov_b32_e32 v3, v5
	v_add_co_u32_e64 v49, s[0:1], s12, v0
	v_mov_b32_e32 v5, v8
	v_addc_co_u32_e64 v50, s[0:1], v9, v1, s[0:1]
	v_mad_u64_u32 v[8:9], s[0:1], s3, v6, v[5:6]
	v_mad_u64_u32 v[9:10], s[0:1], s2, v11, 0
	v_lshlrev_b64 v[2:3], 2, v[2:3]
	v_add_u32_e32 v36, 0x750, v4
	v_add_co_u32_e64 v16, s[0:1], v49, v2
	v_mov_b32_e32 v5, v10
	v_addc_co_u32_e64 v17, s[0:1], v50, v3, s[0:1]
	v_lshlrev_b64 v[2:3], 2, v[7:8]
	v_mad_u64_u32 v[7:8], s[0:1], s3, v11, v[5:6]
	v_add_u32_e32 v8, 0x6c0, v4
	v_mad_u64_u32 v[11:12], s[0:1], s2, v8, 0
	v_add_co_u32_e64 v18, s[0:1], v49, v2
	v_mov_b32_e32 v10, v7
	v_mov_b32_e32 v5, v12
	v_addc_co_u32_e64 v19, s[0:1], v50, v3, s[0:1]
	v_lshlrev_b64 v[2:3], 2, v[9:10]
	v_mad_u64_u32 v[7:8], s[0:1], s3, v8, v[5:6]
	v_or_b32_e32 v10, 0x900, v4
	v_mad_u64_u32 v[8:9], s[0:1], s2, v10, 0
	v_add_co_u32_e64 v20, s[0:1], v49, v2
	v_mov_b32_e32 v5, v9
	v_addc_co_u32_e64 v21, s[0:1], v50, v3, s[0:1]
	v_mov_b32_e32 v12, v7
	v_mad_u64_u32 v[9:10], s[0:1], s3, v10, v[5:6]
	v_add_u32_e32 v7, 0xb40, v4
	v_lshlrev_b64 v[2:3], 2, v[11:12]
	v_mad_u64_u32 v[10:11], s[0:1], s2, v7, 0
	v_add_co_u32_e64 v22, s[0:1], v49, v2
	v_mov_b32_e32 v5, v11
	v_addc_co_u32_e64 v23, s[0:1], v50, v3, s[0:1]
	v_lshlrev_b64 v[2:3], 2, v[8:9]
	v_mad_u64_u32 v[7:8], s[0:1], s3, v7, v[5:6]
	v_add_u32_e32 v5, 0x90, v4
	v_mad_u64_u32 v[12:13], s[0:1], s2, v5, 0
	v_add_co_u32_e64 v24, s[0:1], v49, v2
	v_mov_b32_e32 v11, v7
	v_mov_b32_e32 v7, v13
	v_addc_co_u32_e64 v25, s[0:1], v50, v3, s[0:1]
	v_mad_u64_u32 v[7:8], s[0:1], s3, v5, v[7:8]
	v_add_u32_e32 v8, 0x2d0, v4
	v_lshlrev_b64 v[2:3], 2, v[10:11]
	v_mad_u64_u32 v[9:10], s[0:1], s2, v8, 0
	v_add_co_u32_e64 v26, s[0:1], v49, v2
	v_mov_b32_e32 v13, v7
	v_addc_co_u32_e64 v27, s[0:1], v50, v3, s[0:1]
	v_lshlrev_b64 v[2:3], 2, v[12:13]
	v_mov_b32_e32 v7, v10
	v_mad_u64_u32 v[10:11], s[0:1], s3, v8, v[7:8]
	v_add_co_u32_e64 v28, s[0:1], v49, v2
	v_add_u32_e32 v7, 0x510, v4
	v_addc_co_u32_e64 v29, s[0:1], v50, v3, s[0:1]
	v_mad_u64_u32 v[30:31], s[0:1], s2, v7, 0
	v_lshlrev_b64 v[2:3], 2, v[9:10]
	v_add_co_u32_e64 v32, s[0:1], v49, v2
	v_mov_b32_e32 v2, v31
	v_addc_co_u32_e64 v33, s[0:1], v50, v3, s[0:1]
	v_mad_u64_u32 v[9:10], s[0:1], s3, v7, v[2:3]
	global_load_dword v15, v[16:17], off
	global_load_dword v12, v[18:19], off
	;; [unrolled: 1-line block ×8, first 2 shown]
	v_mad_u64_u32 v[34:35], s[0:1], s2, v36, 0
	v_mov_b32_e32 v31, v9
	v_add_u32_e32 v9, 0x990, v4
	v_mov_b32_e32 v7, v35
	v_mad_u64_u32 v[18:19], s[0:1], s3, v36, v[7:8]
	v_mad_u64_u32 v[19:20], s[0:1], s2, v9, 0
	v_lshlrev_b64 v[16:17], 2, v[30:31]
	v_mov_b32_e32 v35, v18
	v_add_co_u32_e64 v26, s[0:1], v49, v16
	v_mov_b32_e32 v7, v20
	v_addc_co_u32_e64 v27, s[0:1], v50, v17, s[0:1]
	v_mad_u64_u32 v[20:21], s[0:1], s3, v9, v[7:8]
	v_add_u32_e32 v9, 0xbd0, v4
	v_mad_u64_u32 v[21:22], s[0:1], s2, v9, 0
	v_lshlrev_b64 v[16:17], 2, v[34:35]
	v_add_u32_e32 v23, 0x5a0, v4
	v_add_co_u32_e64 v28, s[0:1], v49, v16
	v_mov_b32_e32 v7, v22
	v_addc_co_u32_e64 v29, s[0:1], v50, v17, s[0:1]
	v_lshlrev_b64 v[16:17], 2, v[19:20]
	v_mad_u64_u32 v[18:19], s[0:1], s3, v9, v[7:8]
	v_add_u32_e32 v7, 0x120, v4
	v_mad_u64_u32 v[19:20], s[0:1], s2, v7, 0
	v_add_co_u32_e64 v30, s[0:1], v49, v16
	v_mov_b32_e32 v22, v18
	v_mov_b32_e32 v9, v20
	v_addc_co_u32_e64 v31, s[0:1], v50, v17, s[0:1]
	v_lshlrev_b64 v[16:17], 2, v[21:22]
	v_add_u32_e32 v18, 0x360, v4
	s_waitcnt vmcnt(4)
	v_mad_u64_u32 v[20:21], s[0:1], s3, v7, v[9:10]
	v_mad_u64_u32 v[21:22], s[0:1], s2, v18, 0
	v_add_co_u32_e64 v32, s[0:1], v49, v16
	v_mov_b32_e32 v9, v22
	v_addc_co_u32_e64 v33, s[0:1], v50, v17, s[0:1]
	v_lshlrev_b64 v[16:17], 2, v[19:20]
	v_mad_u64_u32 v[18:19], s[0:1], s3, v18, v[9:10]
	v_mad_u64_u32 v[19:20], s[0:1], s2, v23, 0
	v_add_co_u32_e64 v34, s[0:1], v49, v16
	v_mov_b32_e32 v22, v18
	v_mov_b32_e32 v9, v20
	v_addc_co_u32_e64 v35, s[0:1], v50, v17, s[0:1]
	v_lshlrev_b64 v[16:17], 2, v[21:22]
	v_mad_u64_u32 v[20:21], s[0:1], s3, v23, v[9:10]
	v_add_u32_e32 v18, 0x7e0, v4
	v_mad_u64_u32 v[21:22], s[0:1], s2, v18, 0
	v_add_co_u32_e64 v36, s[0:1], v49, v16
	v_mov_b32_e32 v9, v22
	v_addc_co_u32_e64 v37, s[0:1], v50, v17, s[0:1]
	v_lshlrev_b64 v[16:17], 2, v[19:20]
	v_mad_u64_u32 v[18:19], s[0:1], s3, v18, v[9:10]
	v_add_co_u32_e64 v38, s[0:1], v49, v16
	v_mov_b32_e32 v22, v18
	v_add_u32_e32 v18, 0xa20, v4
	v_addc_co_u32_e64 v39, s[0:1], v50, v17, s[0:1]
	v_mad_u64_u32 v[40:41], s[0:1], s2, v18, 0
	v_lshlrev_b64 v[16:17], 2, v[21:22]
	v_add_u32_e32 v22, 0xc60, v4
	v_add_co_u32_e64 v42, s[0:1], v49, v16
	v_mov_b32_e32 v9, v41
	v_addc_co_u32_e64 v43, s[0:1], v50, v17, s[0:1]
	v_mad_u64_u32 v[20:21], s[0:1], s3, v18, v[9:10]
	global_load_dword v24, v[26:27], off
	global_load_dword v19, v[28:29], off
	;; [unrolled: 1-line block ×8, first 2 shown]
	v_mad_u64_u32 v[44:45], s[0:1], s2, v22, 0
	v_mov_b32_e32 v41, v20
	v_lshlrev_b64 v[26:27], 2, v[40:41]
	v_mov_b32_e32 v9, v45
	v_mad_u64_u32 v[28:29], s[0:1], s3, v22, v[9:10]
	v_add_u32_e32 v9, 0x1b0, v4
	v_mad_u64_u32 v[29:30], s[0:1], s2, v9, 0
	v_add_co_u32_e64 v31, s[0:1], v49, v26
	v_mov_b32_e32 v20, v30
	v_addc_co_u32_e64 v32, s[0:1], v50, v27, s[0:1]
	v_add_u32_e32 v22, 0x3f0, v4
	v_mov_b32_e32 v45, v28
	v_lshlrev_b64 v[26:27], 2, v[44:45]
	s_waitcnt vmcnt(9)
	v_lshrrev_b32_e32 v52, 16, v3
	s_waitcnt vmcnt(7)
	v_lshrrev_b32_e32 v54, 16, v24
	;; [unrolled: 2-line block ×4, first 2 shown]
	s_waitcnt vmcnt(3)
	v_mad_u64_u32 v[33:34], s[0:1], s3, v9, v[20:21]
	v_mad_u64_u32 v[34:35], s[0:1], s2, v22, 0
	v_add_co_u32_e64 v39, s[0:1], v49, v26
	v_mov_b32_e32 v30, v33
	v_mov_b32_e32 v20, v35
	v_addc_co_u32_e64 v40, s[0:1], v50, v27, s[0:1]
	v_lshlrev_b64 v[26:27], 2, v[29:30]
	v_mad_u64_u32 v[28:29], s[0:1], s3, v22, v[20:21]
	v_add_u32_e32 v22, 0x630, v4
	v_mad_u64_u32 v[29:30], s[0:1], s2, v22, 0
	v_add_co_u32_e64 v41, s[0:1], v49, v26
	v_mov_b32_e32 v35, v28
	v_mov_b32_e32 v20, v30
	v_addc_co_u32_e64 v42, s[0:1], v50, v27, s[0:1]
	v_lshlrev_b64 v[26:27], 2, v[34:35]
	v_mad_u64_u32 v[33:34], s[0:1], s3, v22, v[20:21]
	v_add_u32_e32 v22, 0x870, v4
	;; [unrolled: 8-line block ×4, first 2 shown]
	v_mad_u64_u32 v[34:35], s[0:1], s2, v22, 0
	v_add_co_u32_e64 v47, s[0:1], v49, v26
	v_mov_b32_e32 v30, v33
	v_mov_b32_e32 v20, v35
	v_addc_co_u32_e64 v48, s[0:1], v50, v27, s[0:1]
	v_lshlrev_b64 v[26:27], 2, v[29:30]
	v_mad_u64_u32 v[28:29], s[0:1], s3, v22, v[20:21]
	v_add_co_u32_e64 v29, s[0:1], v49, v26
	v_mov_b32_e32 v35, v28
	v_addc_co_u32_e64 v30, s[0:1], v50, v27, s[0:1]
	v_lshlrev_b64 v[26:27], 2, v[34:35]
	v_lshrrev_b32_e32 v20, 16, v12
	v_add_co_u32_e64 v49, s[0:1], v49, v26
	v_addc_co_u32_e64 v50, s[0:1], v50, v27, s[0:1]
	global_load_dword v28, v[31:32], off
	global_load_dword v26, v[39:40], off
	;; [unrolled: 1-line block ×8, first 2 shown]
	v_lshrrev_b32_e32 v41, 16, v15
	v_lshrrev_b32_e32 v43, 16, v13
	;; [unrolled: 1-line block ×8, first 2 shown]
	s_waitcnt vmcnt(10)
	v_lshrrev_b32_e32 v30, 16, v17
	s_waitcnt vmcnt(9)
	v_lshrrev_b32_e32 v50, 16, v18
	;; [unrolled: 2-line block ×11, first 2 shown]
.LBB0_13:
	s_or_b64 exec, exec, s[4:5]
	v_add_f16_e32 v57, v13, v14
	v_add_f16_e32 v56, v15, v13
	v_fma_f16 v15, v57, -0.5, v15
	v_sub_f16_e32 v57, v43, v44
	s_mov_b32 s1, 0xbaee
	s_movk_i32 s0, 0x3aee
	v_fma_f16 v58, v57, s1, v15
	v_fma_f16 v15, v57, s0, v15
	v_add_f16_e32 v57, v41, v43
	v_add_f16_e32 v43, v43, v44
	v_fma_f16 v41, v43, -0.5, v41
	v_sub_f16_e32 v13, v13, v14
	v_add_f16_e32 v56, v56, v14
	v_fma_f16 v14, v13, s0, v41
	v_fma_f16 v13, v13, s1, v41
	v_add_f16_e32 v41, v12, v10
	v_add_f16_e32 v57, v57, v44
	;; [unrolled: 1-line block ×4, first 2 shown]
	v_fma_f16 v12, v41, -0.5, v12
	v_sub_f16_e32 v41, v22, v40
	v_fma_f16 v43, v41, s1, v12
	v_fma_f16 v12, v41, s0, v12
	v_add_f16_e32 v41, v20, v22
	v_add_f16_e32 v22, v22, v40
	v_fma_f16 v20, v22, -0.5, v20
	v_sub_f16_e32 v10, v10, v11
	v_fma_f16 v11, v10, s0, v20
	v_fma_f16 v10, v10, s1, v20
	v_mul_f16_e32 v22, 0xbaee, v10
	v_mul_f16_e32 v10, -0.5, v10
	v_add_f16_e32 v59, v41, v40
	v_mul_f16_e32 v20, 0xbaee, v11
	v_fma_f16 v22, v12, -0.5, v22
	v_mul_f16_e32 v41, 0x3aee, v43
	v_fma_f16 v10, v12, s0, v10
	v_fma_f16 v20, v43, 0.5, v20
	v_add_f16_e32 v62, v15, v22
	v_fma_f16 v11, v11, 0.5, v41
	v_add_f16_e32 v43, v13, v10
	v_sub_f16_e32 v15, v15, v22
	v_sub_f16_e32 v22, v13, v10
	v_add_f16_e32 v13, v54, v55
	v_add_f16_e32 v61, v58, v20
	;; [unrolled: 1-line block ×3, first 2 shown]
	v_sub_f16_e32 v58, v58, v20
	v_sub_f16_e32 v20, v14, v11
	v_add_f16_e32 v10, v3, v24
	v_add_f16_e32 v11, v24, v25
	v_fma_f16 v13, v13, -0.5, v52
	v_sub_f16_e32 v14, v24, v25
	v_add_f16_e32 v24, v19, v23
	v_add_f16_e32 v10, v10, v25
	v_fma_f16 v3, v11, -0.5, v3
	v_sub_f16_e32 v11, v54, v55
	v_fma_f16 v25, v14, s0, v13
	v_fma_f16 v13, v14, s1, v13
	v_add_f16_e32 v14, v2, v19
	v_fma_f16 v2, v24, -0.5, v2
	v_sub_f16_e32 v24, v29, v53
	v_fma_f16 v12, v11, s1, v3
	v_fma_f16 v3, v11, s0, v3
	v_add_f16_e32 v11, v52, v54
	v_fma_f16 v52, v24, s1, v2
	v_fma_f16 v2, v24, s0, v2
	v_add_f16_e32 v24, v27, v29
	v_add_f16_e32 v54, v24, v53
	;; [unrolled: 1-line block ×3, first 2 shown]
	v_fma_f16 v24, v24, -0.5, v27
	v_sub_f16_e32 v19, v19, v23
	v_fma_f16 v27, v19, s0, v24
	v_add_f16_e32 v14, v14, v23
	v_fma_f16 v19, v19, s1, v24
	v_mul_f16_e32 v23, 0xbaee, v27
	v_fma_f16 v29, v52, 0.5, v23
	v_mul_f16_e32 v23, 0xbaee, v19
	v_mul_f16_e32 v19, -0.5, v19
	v_mul_f16_e32 v24, 0x3aee, v52
	v_fma_f16 v19, v2, s0, v19
	v_add_f16_e32 v60, v56, v44
	v_add_f16_e32 v40, v57, v59
	v_sub_f16_e32 v56, v56, v44
	v_sub_f16_e32 v44, v57, v59
	v_fma_f16 v57, v2, -0.5, v23
	v_fma_f16 v52, v27, 0.5, v24
	v_add_f16_e32 v27, v13, v19
	v_sub_f16_e32 v19, v13, v19
	v_add_f16_e32 v13, v50, v51
	v_add_f16_e32 v53, v10, v14
	;; [unrolled: 1-line block ×4, first 2 shown]
	v_sub_f16_e32 v14, v10, v14
	v_sub_f16_e32 v57, v3, v57
	v_sub_f16_e32 v2, v25, v52
	v_add_f16_e32 v3, v21, v18
	v_add_f16_e32 v10, v18, v28
	v_fma_f16 v13, v13, -0.5, v32
	v_sub_f16_e32 v18, v18, v28
	v_add_f16_e32 v25, v16, v26
	v_add_f16_e32 v11, v11, v55
	v_fma_f16 v10, v10, -0.5, v21
	v_fma_f16 v21, v18, s0, v13
	v_fma_f16 v13, v18, s1, v13
	v_add_f16_e32 v18, v17, v16
	v_fma_f16 v17, v25, -0.5, v17
	v_sub_f16_e32 v25, v31, v49
	v_add_f16_e32 v55, v12, v29
	v_add_f16_e32 v23, v11, v54
	v_sub_f16_e32 v63, v12, v29
	v_sub_f16_e32 v29, v11, v54
	v_add_f16_e32 v3, v3, v28
	v_sub_f16_e32 v11, v50, v51
	v_fma_f16 v28, v25, s1, v17
	v_fma_f16 v17, v25, s0, v17
	v_add_f16_e32 v25, v30, v31
	v_fma_f16 v12, v11, s1, v10
	v_fma_f16 v10, v11, s0, v10
	v_add_f16_e32 v11, v32, v50
	v_add_f16_e32 v32, v25, v49
	v_add_f16_e32 v25, v31, v49
	v_fma_f16 v25, v25, -0.5, v30
	v_sub_f16_e32 v16, v16, v26
	v_add_f16_e32 v18, v18, v26
	v_fma_f16 v26, v16, s0, v25
	v_fma_f16 v16, v16, s1, v25
	v_mul_f16_e32 v25, 0xbaee, v26
	v_fma_f16 v30, v28, 0.5, v25
	v_mul_f16_e32 v25, 0xbaee, v16
	v_mul_f16_e32 v28, 0x3aee, v28
	v_mul_f16_e32 v16, -0.5, v16
	v_add_f16_e32 v11, v11, v51
	v_add_f16_e32 v49, v3, v18
	v_fma_f16 v31, v17, -0.5, v25
	v_fma_f16 v52, v26, 0.5, v28
	v_fma_f16 v16, v17, s0, v16
	v_sub_f16_e32 v17, v3, v18
	v_add_f16_e32 v18, v47, v48
	v_add_f16_e32 v50, v12, v30
	v_add_f16_e32 v51, v10, v31
	v_add_f16_e32 v25, v11, v32
	v_add_f16_e32 v26, v21, v52
	v_sub_f16_e32 v3, v12, v30
	v_sub_f16_e32 v12, v10, v31
	;; [unrolled: 1-line block ×4, first 2 shown]
	v_add_f16_e32 v10, v37, v36
	v_add_f16_e32 v11, v36, v38
	v_fma_f16 v18, v18, -0.5, v45
	v_sub_f16_e32 v21, v36, v38
	v_add_f16_e32 v36, v33, v35
	v_fma_f16 v11, v11, -0.5, v37
	v_fma_f16 v37, v21, s0, v18
	v_fma_f16 v18, v21, s1, v18
	v_add_f16_e32 v21, v34, v33
	v_fma_f16 v34, v36, -0.5, v34
	v_sub_f16_e32 v36, v42, v46
	v_add_f16_e32 v28, v13, v16
	v_sub_f16_e32 v31, v13, v16
	v_add_f16_e32 v10, v10, v38
	v_sub_f16_e32 v13, v47, v48
	v_fma_f16 v38, v36, s1, v34
	v_fma_f16 v36, v36, s0, v34
	v_add_f16_e32 v34, v39, v42
	v_fma_f16 v16, v13, s1, v11
	v_fma_f16 v11, v13, s0, v11
	v_add_f16_e32 v13, v45, v47
	v_add_f16_e32 v45, v34, v46
	;; [unrolled: 1-line block ×3, first 2 shown]
	v_fma_f16 v34, v34, -0.5, v39
	v_sub_f16_e32 v33, v33, v35
	v_add_f16_e32 v21, v21, v35
	v_fma_f16 v35, v33, s0, v34
	v_fma_f16 v33, v33, s1, v34
	v_mul_f16_e32 v34, 0xbaee, v35
	v_fma_f16 v39, v38, 0.5, v34
	v_mul_f16_e32 v34, 0xbaee, v33
	v_add_f16_e32 v42, v10, v21
	v_fma_f16 v47, v36, -0.5, v34
	v_sub_f16_e32 v21, v10, v21
	v_mul_u32_u24_e32 v10, 6, v4
	v_add_f16_e32 v13, v13, v48
	v_add_f16_e32 v48, v11, v47
	v_sub_f16_e32 v47, v11, v47
	v_lshl_add_u32 v52, v10, 1, 0
	v_pack_b32_f16 v10, v62, v56
	v_pack_b32_f16 v11, v60, v61
	ds_write2_b32 v52, v11, v10 offset1:1
	v_pack_b32_f16 v10, v58, v15
	ds_write_b32 v52, v10 offset:8
	v_mul_i32_i24_e32 v10, 6, v5
	v_add_f16_e32 v46, v16, v39
	v_add_f16_e32 v34, v13, v45
	v_sub_f16_e32 v16, v16, v39
	v_sub_f16_e32 v39, v13, v45
	v_lshl_add_u32 v10, v10, 1, 0
	v_pack_b32_f16 v11, v59, v14
	v_pack_b32_f16 v13, v53, v55
	ds_write2_b32 v10, v13, v11 offset1:1
	v_pack_b32_f16 v11, v63, v57
	ds_write_b32 v10, v11 offset:8
	v_mul_i32_i24_e32 v11, 6, v7
	v_lshl_add_u32 v11, v11, 1, 0
	v_pack_b32_f16 v3, v3, v12
	v_pack_b32_f16 v13, v51, v17
	;; [unrolled: 1-line block ×3, first 2 shown]
	ds_write_b32 v11, v3 offset:8
	v_mul_i32_i24_e32 v3, 6, v9
	v_mul_f16_e32 v38, 0x3aee, v38
	v_mul_f16_e32 v33, -0.5, v33
	ds_write2_b32 v11, v14, v13 offset1:1
	v_lshl_add_u32 v13, v3, 1, 0
	v_pack_b32_f16 v3, v48, v21
	v_pack_b32_f16 v12, v42, v46
	v_fma_f16 v38, v35, 0.5, v38
	v_fma_f16 v33, v36, s0, v33
	ds_write2_b32 v13, v12, v3 offset1:1
	v_pack_b32_f16 v3, v16, v47
	v_mad_i32_i24 v12, v4, -10, v52
	v_mad_i32_i24 v15, v5, -10, v10
	v_pack_b32_f16 v43, v43, v44
	v_pack_b32_f16 v40, v40, v41
	;; [unrolled: 1-line block ×4, first 2 shown]
	v_add_f16_e32 v35, v37, v38
	v_add_f16_e32 v36, v18, v33
	v_sub_f16_e32 v37, v37, v38
	v_sub_f16_e32 v38, v18, v33
	ds_write_b32 v13, v3 offset:8
	s_waitcnt lgkmcnt(0)
	s_barrier
	v_lshl_add_u32 v14, v6, 1, 0
	v_mad_i32_i24 v16, v7, -10, v11
	ds_read_u16 v33, v12
	ds_read_u16 v58, v12 offset:1440
	ds_read_u16 v54, v12 offset:1728
	;; [unrolled: 1-line block ×8, first 2 shown]
	v_mad_i32_i24 v17, v9, -10, v13
	ds_read_u16 v21, v15
	ds_read_u16 v18, v16
	;; [unrolled: 1-line block ×3, first 2 shown]
	ds_read_u16 v60, v12 offset:2592
	ds_read_u16 v56, v12 offset:2880
	;; [unrolled: 1-line block ×10, first 2 shown]
	ds_read_u16 v64, v14
	ds_read_u16 v42, v12 offset:6624
	s_waitcnt lgkmcnt(0)
	s_barrier
	ds_write2_b32 v52, v40, v43 offset1:1
	ds_write_b32 v52, v20 offset:8
	v_pack_b32_f16 v20, v27, v29
	v_pack_b32_f16 v22, v23, v24
	ds_write_b32 v10, v2 offset:8
	v_pack_b32_f16 v2, v28, v32
	v_pack_b32_f16 v19, v25, v26
	ds_write2_b32 v10, v22, v20 offset1:1
	ds_write2_b32 v11, v19, v2 offset1:1
	v_pack_b32_f16 v2, v30, v31
	ds_write_b32 v11, v2 offset:8
	v_pack_b32_f16 v2, v36, v39
	v_pack_b32_f16 v19, v34, v35
	ds_write2_b32 v13, v19, v2 offset1:1
	v_pack_b32_f16 v2, v37, v38
	s_movk_i32 s4, 0xab
	ds_write_b32 v13, v2 offset:8
	v_mul_lo_u16_sdwa v2, v4, s4 dst_sel:DWORD dst_unused:UNUSED_PAD src0_sel:BYTE_0 src1_sel:DWORD
	v_lshrrev_b16_e32 v19, 10, v2
	v_mul_lo_u16_e32 v2, 6, v19
	v_sub_u16_e32 v20, v4, v2
	v_mov_b32_e32 v2, 5
	v_mul_u32_u24_sdwa v22, v20, v2 dst_sel:DWORD dst_unused:UNUSED_PAD src0_sel:BYTE_0 src1_sel:DWORD
	v_lshlrev_b32_e32 v24, 2, v22
	s_waitcnt lgkmcnt(0)
	s_barrier
	global_load_dwordx4 v[34:37], v24, s[8:9]
	s_mov_b32 s4, 0xaaab
	v_mul_u32_u24_sdwa v22, v5, s4 dst_sel:DWORD dst_unused:UNUSED_PAD src0_sel:WORD_0 src1_sel:DWORD
	v_lshrrev_b32_e32 v22, 18, v22
	v_mul_lo_u16_e32 v23, 6, v22
	v_sub_u16_e32 v23, v5, v23
	v_mul_u32_u24_e32 v25, 5, v23
	v_lshlrev_b32_e32 v27, 2, v25
	global_load_dwordx4 v[38:41], v27, s[8:9]
	ds_read_u16 v28, v12 offset:3456
	ds_read_u16 v30, v12 offset:3744
	;; [unrolled: 1-line block ×3, first 2 shown]
	ds_read_u16 v25, v14
	ds_read_u16 v32, v15
	;; [unrolled: 1-line block ×4, first 2 shown]
	ds_read_u16 v43, v12 offset:2592
	ds_read_u16 v44, v12 offset:2880
	;; [unrolled: 1-line block ×11, first 2 shown]
	global_load_dword v74, v24, s[8:9] offset:16
	global_load_dword v81, v27, s[8:9] offset:16
	v_mul_u32_u24_e32 v19, 0x48, v19
	s_waitcnt vmcnt(3) lgkmcnt(14)
	v_mul_f16_sdwa v24, v25, v34 dst_sel:DWORD dst_unused:UNUSED_PAD src0_sel:DWORD src1_sel:WORD_1
	v_fma_f16 v75, v64, v34, v24
	v_mul_f16_sdwa v24, v64, v34 dst_sel:DWORD dst_unused:UNUSED_PAD src0_sel:DWORD src1_sel:WORD_1
	v_fma_f16 v76, v25, v34, -v24
	s_waitcnt lgkmcnt(7)
	v_mul_f16_sdwa v24, v65, v35 dst_sel:DWORD dst_unused:UNUSED_PAD src0_sel:DWORD src1_sel:WORD_1
	v_fma_f16 v77, v63, v35, v24
	v_mul_f16_sdwa v24, v63, v35 dst_sel:DWORD dst_unused:UNUSED_PAD src0_sel:DWORD src1_sel:WORD_1
	v_fma_f16 v78, v65, v35, -v24
	v_mul_f16_sdwa v24, v28, v36 dst_sel:DWORD dst_unused:UNUSED_PAD src0_sel:DWORD src1_sel:WORD_1
	v_fma_f16 v79, v61, v36, v24
	v_mul_u32_u24_sdwa v24, v7, s4 dst_sel:DWORD dst_unused:UNUSED_PAD src0_sel:WORD_0 src1_sel:DWORD
	v_lshrrev_b32_e32 v24, 18, v24
	v_mul_lo_u16_e32 v25, 6, v24
	v_mul_f16_sdwa v35, v61, v36 dst_sel:DWORD dst_unused:UNUSED_PAD src0_sel:DWORD src1_sel:WORD_1
	v_sub_u16_e32 v25, v7, v25
	v_fma_f16 v61, v28, v36, -v35
	s_waitcnt lgkmcnt(2)
	v_mul_f16_sdwa v28, v71, v37 dst_sel:DWORD dst_unused:UNUSED_PAD src0_sel:DWORD src1_sel:WORD_1
	v_mul_u32_u24_e32 v34, 5, v25
	v_fma_f16 v80, v62, v37, v28
	ds_read_u16 v28, v12 offset:1440
	v_lshlrev_b32_e32 v34, 2, v34
	global_load_dwordx4 v[63:66], v34, s[8:9]
	v_mul_f16_sdwa v35, v62, v37 dst_sel:DWORD dst_unused:UNUSED_PAD src0_sel:DWORD src1_sel:WORD_1
	v_fma_f16 v62, v71, v37, -v35
	ds_read_u16 v71, v12 offset:1728
	s_waitcnt vmcnt(3) lgkmcnt(1)
	v_mul_f16_sdwa v27, v28, v38 dst_sel:DWORD dst_unused:UNUSED_PAD src0_sel:DWORD src1_sel:WORD_1
	v_fma_f16 v82, v58, v38, v27
	v_mul_f16_sdwa v27, v58, v38 dst_sel:DWORD dst_unused:UNUSED_PAD src0_sel:DWORD src1_sel:WORD_1
	v_fma_f16 v38, v28, v38, -v27
	v_mul_f16_sdwa v27, v43, v39 dst_sel:DWORD dst_unused:UNUSED_PAD src0_sel:DWORD src1_sel:WORD_1
	v_fma_f16 v58, v60, v39, v27
	v_mul_f16_sdwa v27, v60, v39 dst_sel:DWORD dst_unused:UNUSED_PAD src0_sel:DWORD src1_sel:WORD_1
	v_fma_f16 v39, v43, v39, -v27
	global_load_dword v43, v34, s[8:9] offset:16
	v_mul_f16_sdwa v27, v30, v40 dst_sel:DWORD dst_unused:UNUSED_PAD src0_sel:DWORD src1_sel:WORD_1
	v_fma_f16 v60, v57, v40, v27
	v_mul_f16_sdwa v27, v57, v40 dst_sel:DWORD dst_unused:UNUSED_PAD src0_sel:DWORD src1_sel:WORD_1
	v_fma_f16 v30, v30, v40, -v27
	v_mul_f16_sdwa v27, v68, v41 dst_sel:DWORD dst_unused:UNUSED_PAD src0_sel:DWORD src1_sel:WORD_1
	v_fma_f16 v40, v59, v41, v27
	v_mul_f16_sdwa v27, v59, v41 dst_sel:DWORD dst_unused:UNUSED_PAD src0_sel:DWORD src1_sel:WORD_1
	v_fma_f16 v41, v68, v41, -v27
	v_mul_u32_u24_sdwa v27, v9, s4 dst_sel:DWORD dst_unused:UNUSED_PAD src0_sel:WORD_0 src1_sel:DWORD
	v_lshrrev_b32_e32 v27, 18, v27
	v_mul_lo_u16_e32 v28, 6, v27
	v_sub_u16_e32 v28, v9, v28
	v_mul_u32_u24_e32 v34, 5, v28
	v_lshlrev_b32_e32 v57, 2, v34
	global_load_dwordx4 v[34:37], v57, s[8:9]
	global_load_dword v59, v57, s[8:9] offset:16
	s_mov_b32 s4, 0xe38f
	s_waitcnt vmcnt(3) lgkmcnt(0)
	v_mul_f16_sdwa v57, v71, v63 dst_sel:DWORD dst_unused:UNUSED_PAD src0_sel:DWORD src1_sel:WORD_1
	v_fma_f16 v57, v54, v63, v57
	v_mul_f16_sdwa v54, v54, v63 dst_sel:DWORD dst_unused:UNUSED_PAD src0_sel:DWORD src1_sel:WORD_1
	v_fma_f16 v54, v71, v63, -v54
	v_mul_f16_sdwa v63, v44, v64 dst_sel:DWORD dst_unused:UNUSED_PAD src0_sel:DWORD src1_sel:WORD_1
	v_fma_f16 v63, v56, v64, v63
	v_mul_f16_sdwa v56, v56, v64 dst_sel:DWORD dst_unused:UNUSED_PAD src0_sel:DWORD src1_sel:WORD_1
	v_fma_f16 v56, v44, v64, -v56
	;; [unrolled: 4-line block ×4, first 2 shown]
	ds_read_u16 v44, v12 offset:5760
	ds_read_u16 v65, v12
	ds_read_u16 v66, v12 offset:6048
	ds_read_u16 v68, v12 offset:6336
	s_waitcnt lgkmcnt(0)
	v_mul_f16_sdwa v69, v44, v74 dst_sel:DWORD dst_unused:UNUSED_PAD src0_sel:DWORD src1_sel:WORD_1
	v_fma_f16 v69, v50, v74, v69
	v_mul_f16_sdwa v50, v50, v74 dst_sel:DWORD dst_unused:UNUSED_PAD src0_sel:DWORD src1_sel:WORD_1
	v_fma_f16 v44, v44, v74, -v50
	v_mul_f16_sdwa v50, v66, v81 dst_sel:DWORD dst_unused:UNUSED_PAD src0_sel:DWORD src1_sel:WORD_1
	v_fma_f16 v50, v48, v81, v50
	v_mul_f16_sdwa v48, v48, v81 dst_sel:DWORD dst_unused:UNUSED_PAD src0_sel:DWORD src1_sel:WORD_1
	v_fma_f16 v48, v66, v81, -v48
	s_waitcnt vmcnt(2)
	v_mul_f16_sdwa v66, v68, v43 dst_sel:DWORD dst_unused:UNUSED_PAD src0_sel:DWORD src1_sel:WORD_1
	v_fma_f16 v66, v46, v43, v66
	v_mul_f16_sdwa v46, v46, v43 dst_sel:DWORD dst_unused:UNUSED_PAD src0_sel:DWORD src1_sel:WORD_1
	v_fma_f16 v68, v68, v43, -v46
	s_waitcnt vmcnt(1)
	v_mul_f16_sdwa v43, v67, v34 dst_sel:DWORD dst_unused:UNUSED_PAD src0_sel:DWORD src1_sel:WORD_1
	v_fma_f16 v71, v51, v34, v43
	v_mul_f16_sdwa v43, v51, v34 dst_sel:DWORD dst_unused:UNUSED_PAD src0_sel:DWORD src1_sel:WORD_1
	v_fma_f16 v34, v67, v34, -v43
	v_mul_f16_sdwa v43, v52, v35 dst_sel:DWORD dst_unused:UNUSED_PAD src0_sel:DWORD src1_sel:WORD_1
	v_fma_f16 v51, v47, v35, v43
	v_mul_f16_sdwa v43, v47, v35 dst_sel:DWORD dst_unused:UNUSED_PAD src0_sel:DWORD src1_sel:WORD_1
	v_fma_f16 v35, v52, v35, -v43
	;; [unrolled: 4-line block ×4, first 2 shown]
	s_waitcnt vmcnt(0)
	v_mul_f16_sdwa v43, v73, v59 dst_sel:DWORD dst_unused:UNUSED_PAD src0_sel:DWORD src1_sel:WORD_1
	v_fma_f16 v70, v42, v59, v43
	v_mul_f16_sdwa v42, v42, v59 dst_sel:DWORD dst_unused:UNUSED_PAD src0_sel:DWORD src1_sel:WORD_1
	v_fma_f16 v59, v73, v59, -v42
	v_add_f16_e32 v42, v33, v77
	v_add_f16_e32 v45, v42, v80
	v_add_f16_e32 v42, v77, v80
	v_fma_f16 v33, v42, -0.5, v33
	v_sub_f16_e32 v42, v78, v62
	v_fma_f16 v46, v42, s1, v33
	v_fma_f16 v33, v42, s0, v33
	v_add_f16_e32 v42, v65, v78
	v_add_f16_e32 v47, v42, v62
	v_add_f16_e32 v42, v78, v62
	v_fma_f16 v42, v42, -0.5, v65
	v_sub_f16_e32 v43, v77, v80
	v_fma_f16 v49, v43, s0, v42
	v_fma_f16 v62, v43, s1, v42
	;; [unrolled: 7-line block ×4, first 2 shown]
	v_mul_f16_e32 v42, 0xbaee, v44
	v_mul_f16_e32 v43, 0.5, v44
	v_fma_f16 v75, v72, 0.5, v42
	v_mul_f16_e32 v42, 0xbaee, v61
	v_fma_f16 v72, v72, s0, v43
	v_mul_f16_e32 v44, -0.5, v61
	v_add_f16_e32 v76, v46, v75
	v_fma_f16 v77, v73, -0.5, v42
	v_add_f16_e32 v43, v49, v72
	v_fma_f16 v61, v73, s0, v44
	v_sub_f16_e32 v73, v46, v75
	v_sub_f16_e32 v46, v49, v72
	v_add_f16_e32 v49, v21, v58
	v_add_f16_e32 v69, v45, v65
	;; [unrolled: 1-line block ×4, first 2 shown]
	v_sub_f16_e32 v65, v45, v65
	v_sub_f16_e32 v45, v47, v74
	;; [unrolled: 1-line block ×3, first 2 shown]
	v_add_f16_e32 v61, v49, v40
	v_add_f16_e32 v49, v58, v40
	v_fma_f16 v21, v49, -0.5, v21
	v_sub_f16_e32 v49, v39, v41
	v_fma_f16 v62, v49, s1, v21
	v_fma_f16 v21, v49, s0, v21
	v_add_f16_e32 v49, v32, v39
	v_add_f16_e32 v72, v49, v41
	v_add_f16_e32 v39, v39, v41
	v_add_f16_e32 v41, v60, v50
	v_fma_f16 v41, v41, -0.5, v82
	v_sub_f16_e32 v49, v30, v48
	v_fma_f16 v32, v39, -0.5, v32
	v_sub_f16_e32 v39, v58, v40
	v_fma_f16 v58, v49, s1, v41
	v_fma_f16 v41, v49, s0, v41
	v_add_f16_e32 v49, v38, v30
	v_add_f16_e32 v30, v30, v48
	v_fma_f16 v30, v30, -0.5, v38
	v_sub_f16_e32 v38, v60, v50
	v_add_f16_e32 v74, v49, v48
	v_fma_f16 v49, v38, s0, v30
	v_fma_f16 v30, v38, s1, v30
	v_mul_f16_e32 v48, 0xbaee, v49
	v_fma_f16 v40, v39, s0, v32
	v_fma_f16 v32, v39, s1, v32
	v_add_f16_e32 v39, v82, v60
	v_fma_f16 v60, v58, 0.5, v48
	v_mul_f16_e32 v48, 0xbaee, v30
	v_mul_f16_e32 v30, -0.5, v30
	v_add_f16_e32 v39, v39, v50
	v_fma_f16 v30, v41, s0, v30
	v_add_f16_e32 v38, v61, v39
	v_mul_f16_e32 v49, 0.5, v49
	v_add_f16_e32 v50, v32, v30
	v_sub_f16_e32 v39, v61, v39
	v_sub_f16_e32 v61, v32, v30
	v_add_f16_e32 v32, v63, v53
	v_fma_f16 v58, v58, s0, v49
	v_add_f16_e32 v30, v18, v63
	v_fma_f16 v18, v32, -0.5, v18
	v_sub_f16_e32 v32, v56, v55
	v_add_f16_e32 v49, v40, v58
	v_sub_f16_e32 v58, v40, v58
	v_fma_f16 v40, v32, s1, v18
	v_fma_f16 v18, v32, s0, v18
	v_add_f16_e32 v32, v29, v56
	v_add_f16_e32 v32, v32, v55
	;; [unrolled: 1-line block ×4, first 2 shown]
	v_fma_f16 v29, v55, -0.5, v29
	v_sub_f16_e32 v53, v63, v53
	v_add_f16_e32 v56, v64, v66
	v_fma_f16 v55, v53, s0, v29
	v_fma_f16 v29, v53, s1, v29
	v_add_f16_e32 v53, v57, v64
	v_fma_f16 v56, v56, -0.5, v57
	v_sub_f16_e32 v57, v31, v68
	v_add_f16_e32 v78, v33, v77
	v_sub_f16_e32 v33, v33, v77
	v_add_f16_e32 v75, v62, v60
	v_fma_f16 v77, v41, -0.5, v48
	v_sub_f16_e32 v41, v62, v60
	v_fma_f16 v62, v57, s1, v56
	v_fma_f16 v56, v57, s0, v56
	v_add_f16_e32 v57, v54, v31
	v_add_f16_e32 v31, v31, v68
	v_fma_f16 v31, v31, -0.5, v54
	v_sub_f16_e32 v54, v64, v66
	v_fma_f16 v63, v54, s0, v31
	v_fma_f16 v31, v54, s1, v31
	v_add_f16_e32 v53, v53, v66
	v_add_f16_e32 v57, v57, v68
	v_mul_f16_e32 v68, 0xbaee, v31
	v_mul_f16_e32 v31, -0.5, v31
	v_add_f16_e32 v48, v72, v74
	v_sub_f16_e32 v60, v72, v74
	v_add_f16_e32 v54, v30, v53
	v_add_f16_e32 v74, v32, v57
	v_fma_f16 v31, v56, s0, v31
	v_sub_f16_e32 v30, v30, v53
	v_sub_f16_e32 v53, v32, v57
	v_add_f16_e32 v32, v51, v67
	v_fma_f16 v68, v56, -0.5, v68
	v_add_f16_e32 v56, v29, v31
	v_sub_f16_e32 v29, v29, v31
	v_add_f16_e32 v31, v3, v51
	v_fma_f16 v3, v32, -0.5, v3
	v_sub_f16_e32 v32, v35, v37
	v_mul_f16_e32 v64, 0xbaee, v63
	v_mul_f16_e32 v63, 0.5, v63
	v_fma_f16 v57, v32, s1, v3
	v_fma_f16 v3, v32, s0, v3
	v_add_f16_e32 v32, v26, v35
	v_add_f16_e32 v35, v35, v37
	v_fma_f16 v64, v62, 0.5, v64
	v_fma_f16 v62, v62, s0, v63
	v_fma_f16 v26, v35, -0.5, v26
	v_sub_f16_e32 v35, v51, v67
	v_add_f16_e32 v51, v52, v70
	v_add_f16_e32 v63, v55, v62
	v_sub_f16_e32 v55, v55, v62
	v_fma_f16 v51, v51, -0.5, v71
	v_sub_f16_e32 v62, v36, v59
	v_add_f16_e32 v66, v40, v64
	v_sub_f16_e32 v40, v40, v64
	v_fma_f16 v64, v62, s1, v51
	v_fma_f16 v51, v62, s0, v51
	v_add_f16_e32 v62, v34, v36
	v_add_f16_e32 v36, v36, v59
	v_fma_f16 v34, v36, -0.5, v34
	v_sub_f16_e32 v36, v52, v70
	v_add_f16_e32 v32, v32, v37
	v_fma_f16 v37, v35, s0, v26
	v_fma_f16 v26, v35, s1, v26
	v_add_f16_e32 v35, v71, v52
	v_fma_f16 v52, v36, s0, v34
	v_fma_f16 v34, v36, s1, v34
	v_add_f16_e32 v72, v18, v68
	v_sub_f16_e32 v18, v18, v68
	v_add_f16_e32 v62, v62, v59
	v_mul_f16_e32 v59, 0xbaee, v52
	v_mul_f16_e32 v68, 0xbaee, v34
	v_add_f16_e32 v31, v31, v67
	v_add_f16_e32 v35, v35, v70
	v_fma_f16 v59, v64, 0.5, v59
	v_fma_f16 v68, v51, -0.5, v68
	v_add_f16_e32 v36, v31, v35
	v_add_f16_e32 v67, v57, v59
	v_add_f16_e32 v70, v3, v68
	v_sub_f16_e32 v31, v31, v35
	v_sub_f16_e32 v35, v57, v59
	;; [unrolled: 1-line block ×3, first 2 shown]
	v_mov_b32_e32 v3, 1
	v_lshlrev_b32_sdwa v20, v3, v20 dst_sel:DWORD dst_unused:UNUSED_PAD src0_sel:DWORD src1_sel:BYTE_0
	v_add3_u32 v19, 0, v19, v20
	v_mul_u32_u24_e32 v20, 0x48, v22
	v_lshlrev_b32_e32 v22, 1, v23
	v_add_f16_e32 v79, v21, v77
	v_sub_f16_e32 v21, v21, v77
	v_add3_u32 v20, 0, v20, v22
	s_barrier
	ds_write_b16 v19, v69
	ds_write_b16 v19, v76 offset:12
	ds_write_b16 v19, v78 offset:24
	;; [unrolled: 1-line block ×5, first 2 shown]
	ds_write_b16 v20, v38
	ds_write_b16 v20, v75 offset:12
	ds_write_b16 v20, v79 offset:24
	;; [unrolled: 1-line block ×5, first 2 shown]
	v_mul_u32_u24_e32 v21, 0x48, v24
	v_lshlrev_b32_e32 v22, 1, v25
	v_add3_u32 v22, 0, v21, v22
	v_mul_f16_e32 v52, 0.5, v52
	v_mul_f16_e32 v34, -0.5, v34
	ds_write_b16 v22, v54
	ds_write_b16 v22, v66 offset:12
	ds_write_b16 v22, v72 offset:24
	;; [unrolled: 1-line block ×5, first 2 shown]
	v_mul_u32_u24_e32 v18, 0x48, v27
	v_lshlrev_b32_e32 v21, 1, v28
	v_fma_f16 v52, v64, s0, v52
	v_fma_f16 v34, v51, s0, v34
	v_add3_u32 v24, 0, v18, v21
	v_add_f16_e32 v71, v32, v62
	v_add_f16_e32 v64, v37, v52
	;; [unrolled: 1-line block ×3, first 2 shown]
	v_sub_f16_e32 v59, v32, v62
	v_sub_f16_e32 v52, v37, v52
	;; [unrolled: 1-line block ×3, first 2 shown]
	ds_write_b16 v24, v36
	ds_write_b16 v24, v67 offset:12
	ds_write_b16 v24, v70 offset:24
	;; [unrolled: 1-line block ×5, first 2 shown]
	s_waitcnt lgkmcnt(0)
	s_barrier
	ds_read_u16 v26, v12
	ds_read_u16 v28, v12 offset:1440
	ds_read_u16 v39, v12 offset:1728
	;; [unrolled: 1-line block ×8, first 2 shown]
	ds_read_u16 v23, v15
	ds_read_u16 v21, v16
	;; [unrolled: 1-line block ×3, first 2 shown]
	ds_read_u16 v66, v12 offset:2592
	ds_read_u16 v40, v12 offset:2880
	;; [unrolled: 1-line block ×10, first 2 shown]
	ds_read_u16 v54, v14
	ds_read_u16 v30, v12 offset:6624
	s_waitcnt lgkmcnt(0)
	s_barrier
	ds_write_b16 v19, v42
	ds_write_b16 v19, v43 offset:12
	ds_write_b16 v19, v44 offset:24
	ds_write_b16 v19, v45 offset:36
	ds_write_b16 v19, v46 offset:48
	ds_write_b16 v19, v47 offset:60
	ds_write_b16 v20, v48
	ds_write_b16 v20, v49 offset:12
	ds_write_b16 v20, v50 offset:24
	ds_write_b16 v20, v60 offset:36
	ds_write_b16 v20, v58 offset:48
	ds_write_b16 v20, v61 offset:60
	;; [unrolled: 6-line block ×4, first 2 shown]
	v_mov_b32_e32 v19, 57
	v_mul_lo_u16_sdwa v19, v4, v19 dst_sel:DWORD dst_unused:UNUSED_PAD src0_sel:BYTE_0 src1_sel:DWORD
	v_lshrrev_b16_e32 v20, 11, v19
	v_mul_lo_u16_e32 v19, 36, v20
	v_sub_u16_e32 v19, v4, v19
	v_mul_u32_u24_sdwa v2, v19, v2 dst_sel:DWORD dst_unused:UNUSED_PAD src0_sel:BYTE_0 src1_sel:DWORD
	v_lshlrev_b32_e32 v24, 2, v2
	s_waitcnt lgkmcnt(0)
	s_barrier
	global_load_dwordx4 v[43:46], v24, s[8:9] offset:120
	v_mul_u32_u24_sdwa v2, v5, s4 dst_sel:DWORD dst_unused:UNUSED_PAD src0_sel:WORD_0 src1_sel:DWORD
	v_lshrrev_b32_e32 v2, 21, v2
	v_mul_lo_u16_e32 v22, 36, v2
	v_sub_u16_e32 v22, v5, v22
	v_mul_u32_u24_e32 v27, 5, v22
	v_lshlrev_b32_e32 v29, 2, v27
	global_load_dwordx4 v[47:50], v29, s[8:9] offset:120
	ds_read_u16 v55, v12 offset:3456
	ds_read_u16 v56, v12 offset:3744
	;; [unrolled: 1-line block ×3, first 2 shown]
	ds_read_u16 v51, v14
	ds_read_u16 v59, v15
	;; [unrolled: 1-line block ×4, first 2 shown]
	ds_read_u16 v60, v12 offset:2592
	ds_read_u16 v61, v12 offset:2880
	;; [unrolled: 1-line block ×11, first 2 shown]
	global_load_dword v74, v24, s[8:9] offset:136
	global_load_dword v80, v29, s[8:9] offset:136
	v_mul_u32_u24_e32 v20, 0x1b0, v20
	v_lshlrev_b32_sdwa v3, v3, v19 dst_sel:DWORD dst_unused:UNUSED_PAD src0_sel:DWORD src1_sel:BYTE_0
	v_mul_u32_u24_e32 v2, 0x1b0, v2
	v_lshlrev_b32_e32 v19, 1, v22
	v_add3_u32 v3, 0, v20, v3
	v_add3_u32 v2, 0, v2, v19
	s_waitcnt vmcnt(3) lgkmcnt(14)
	v_mul_f16_sdwa v24, v51, v43 dst_sel:DWORD dst_unused:UNUSED_PAD src0_sel:DWORD src1_sel:WORD_1
	v_fma_f16 v75, v54, v43, v24
	v_mul_f16_sdwa v24, v54, v43 dst_sel:DWORD dst_unused:UNUSED_PAD src0_sel:DWORD src1_sel:WORD_1
	v_fma_f16 v76, v51, v43, -v24
	s_waitcnt lgkmcnt(7)
	v_mul_f16_sdwa v24, v52, v44 dst_sel:DWORD dst_unused:UNUSED_PAD src0_sel:DWORD src1_sel:WORD_1
	v_fma_f16 v77, v25, v44, v24
	v_mul_f16_sdwa v24, v25, v44 dst_sel:DWORD dst_unused:UNUSED_PAD src0_sel:DWORD src1_sel:WORD_1
	v_fma_f16 v78, v52, v44, -v24
	v_mul_f16_sdwa v24, v55, v45 dst_sel:DWORD dst_unused:UNUSED_PAD src0_sel:DWORD src1_sel:WORD_1
	v_mul_f16_sdwa v44, v57, v45 dst_sel:DWORD dst_unused:UNUSED_PAD src0_sel:DWORD src1_sel:WORD_1
	v_fma_f16 v79, v57, v45, v24
	v_mul_u32_u24_sdwa v24, v7, s4 dst_sel:DWORD dst_unused:UNUSED_PAD src0_sel:WORD_0 src1_sel:DWORD
	v_fma_f16 v55, v55, v45, -v44
	s_waitcnt lgkmcnt(2)
	v_mul_f16_sdwa v44, v71, v46 dst_sel:DWORD dst_unused:UNUSED_PAD src0_sel:DWORD src1_sel:WORD_1
	v_lshrrev_b32_e32 v24, 21, v24
	v_fma_f16 v57, v68, v46, v44
	ds_read_u16 v44, v12 offset:1440
	v_mul_lo_u16_e32 v25, 36, v24
	v_sub_u16_e32 v25, v7, v25
	v_mul_u32_u24_e32 v43, 5, v25
	v_lshlrev_b32_e32 v43, 2, v43
	v_mul_f16_sdwa v45, v68, v46 dst_sel:DWORD dst_unused:UNUSED_PAD src0_sel:DWORD src1_sel:WORD_1
	global_load_dwordx4 v[51:54], v43, s[8:9] offset:120
	v_fma_f16 v68, v71, v46, -v45
	ds_read_u16 v71, v12 offset:1728
	s_waitcnt vmcnt(3) lgkmcnt(1)
	v_mul_f16_sdwa v29, v44, v47 dst_sel:DWORD dst_unused:UNUSED_PAD src0_sel:DWORD src1_sel:WORD_1
	v_fma_f16 v81, v28, v47, v29
	v_mul_f16_sdwa v28, v28, v47 dst_sel:DWORD dst_unused:UNUSED_PAD src0_sel:DWORD src1_sel:WORD_1
	v_fma_f16 v82, v44, v47, -v28
	global_load_dword v47, v43, s[8:9] offset:136
	v_mul_f16_sdwa v28, v60, v48 dst_sel:DWORD dst_unused:UNUSED_PAD src0_sel:DWORD src1_sel:WORD_1
	v_fma_f16 v83, v66, v48, v28
	v_mul_f16_sdwa v28, v66, v48 dst_sel:DWORD dst_unused:UNUSED_PAD src0_sel:DWORD src1_sel:WORD_1
	v_fma_f16 v60, v60, v48, -v28
	v_mul_f16_sdwa v28, v56, v49 dst_sel:DWORD dst_unused:UNUSED_PAD src0_sel:DWORD src1_sel:WORD_1
	v_fma_f16 v66, v65, v49, v28
	v_mul_f16_sdwa v28, v65, v49 dst_sel:DWORD dst_unused:UNUSED_PAD src0_sel:DWORD src1_sel:WORD_1
	v_fma_f16 v49, v56, v49, -v28
	;; [unrolled: 4-line block ×3, first 2 shown]
	v_mul_u32_u24_sdwa v28, v9, s4 dst_sel:DWORD dst_unused:UNUSED_PAD src0_sel:WORD_0 src1_sel:DWORD
	v_lshrrev_b32_e32 v28, 21, v28
	v_mul_lo_u16_e32 v29, 36, v28
	v_sub_u16_e32 v29, v9, v29
	v_mul_u32_u24_e32 v43, 5, v29
	v_lshlrev_b32_e32 v48, 2, v43
	global_load_dwordx4 v[43:46], v48, s[8:9] offset:120
	global_load_dword v64, v48, s[8:9] offset:136
	v_mul_u32_u24_e32 v19, 0x1b0, v24
	v_lshlrev_b32_e32 v20, 1, v25
	v_add3_u32 v19, 0, v19, v20
	v_mul_u32_u24_e32 v20, 0x1b0, v28
	s_waitcnt vmcnt(3) lgkmcnt(0)
	v_mul_f16_sdwa v48, v71, v51 dst_sel:DWORD dst_unused:UNUSED_PAD src0_sel:DWORD src1_sel:WORD_1
	v_fma_f16 v65, v39, v51, v48
	v_mul_f16_sdwa v39, v39, v51 dst_sel:DWORD dst_unused:UNUSED_PAD src0_sel:DWORD src1_sel:WORD_1
	v_fma_f16 v67, v71, v51, -v39
	v_mul_f16_sdwa v39, v61, v52 dst_sel:DWORD dst_unused:UNUSED_PAD src0_sel:DWORD src1_sel:WORD_1
	v_fma_f16 v71, v40, v52, v39
	v_mul_f16_sdwa v39, v40, v52 dst_sel:DWORD dst_unused:UNUSED_PAD src0_sel:DWORD src1_sel:WORD_1
	v_fma_f16 v40, v61, v52, -v39
	v_mul_f16_sdwa v39, v58, v53 dst_sel:DWORD dst_unused:UNUSED_PAD src0_sel:DWORD src1_sel:WORD_1
	v_fma_f16 v52, v37, v53, v39
	v_mul_f16_sdwa v37, v37, v53 dst_sel:DWORD dst_unused:UNUSED_PAD src0_sel:DWORD src1_sel:WORD_1
	v_mul_f16_sdwa v39, v69, v54 dst_sel:DWORD dst_unused:UNUSED_PAD src0_sel:DWORD src1_sel:WORD_1
	v_fma_f16 v37, v58, v53, -v37
	v_fma_f16 v53, v41, v54, v39
	v_mul_f16_sdwa v39, v41, v54 dst_sel:DWORD dst_unused:UNUSED_PAD src0_sel:DWORD src1_sel:WORD_1
	v_fma_f16 v54, v69, v54, -v39
	ds_read_u16 v39, v12 offset:5760
	ds_read_u16 v41, v12
	ds_read_u16 v48, v12 offset:6048
	ds_read_u16 v51, v12 offset:6336
	s_waitcnt lgkmcnt(0)
	v_mul_f16_sdwa v58, v39, v74 dst_sel:DWORD dst_unused:UNUSED_PAD src0_sel:DWORD src1_sel:WORD_1
	v_fma_f16 v58, v33, v74, v58
	v_mul_f16_sdwa v33, v33, v74 dst_sel:DWORD dst_unused:UNUSED_PAD src0_sel:DWORD src1_sel:WORD_1
	v_fma_f16 v33, v39, v74, -v33
	v_mul_f16_sdwa v39, v48, v80 dst_sel:DWORD dst_unused:UNUSED_PAD src0_sel:DWORD src1_sel:WORD_1
	v_fma_f16 v61, v31, v80, v39
	s_waitcnt vmcnt(2)
	v_mul_f16_sdwa v39, v51, v47 dst_sel:DWORD dst_unused:UNUSED_PAD src0_sel:DWORD src1_sel:WORD_1
	v_fma_f16 v69, v32, v47, v39
	s_waitcnt vmcnt(1)
	v_mul_f16_sdwa v39, v63, v43 dst_sel:DWORD dst_unused:UNUSED_PAD src0_sel:DWORD src1_sel:WORD_1
	v_fma_f16 v74, v36, v43, v39
	v_mul_f16_sdwa v36, v36, v43 dst_sel:DWORD dst_unused:UNUSED_PAD src0_sel:DWORD src1_sel:WORD_1
	v_mul_f16_sdwa v39, v62, v44 dst_sel:DWORD dst_unused:UNUSED_PAD src0_sel:DWORD src1_sel:WORD_1
	v_fma_f16 v36, v63, v43, -v36
	v_fma_f16 v63, v34, v44, v39
	v_mul_f16_sdwa v34, v34, v44 dst_sel:DWORD dst_unused:UNUSED_PAD src0_sel:DWORD src1_sel:WORD_1
	v_mul_f16_sdwa v39, v72, v45 dst_sel:DWORD dst_unused:UNUSED_PAD src0_sel:DWORD src1_sel:WORD_1
	v_fma_f16 v34, v62, v44, -v34
	;; [unrolled: 4-line block ×3, first 2 shown]
	v_fma_f16 v45, v35, v46, v39
	s_waitcnt vmcnt(0)
	v_mul_f16_sdwa v39, v73, v64 dst_sel:DWORD dst_unused:UNUSED_PAD src0_sel:DWORD src1_sel:WORD_1
	v_mul_f16_sdwa v35, v35, v46 dst_sel:DWORD dst_unused:UNUSED_PAD src0_sel:DWORD src1_sel:WORD_1
	v_fma_f16 v62, v30, v64, v39
	v_add_f16_e32 v39, v26, v77
	v_fma_f16 v35, v70, v46, -v35
	v_add_f16_e32 v46, v39, v57
	v_add_f16_e32 v39, v77, v57
	v_mul_f16_sdwa v32, v32, v47 dst_sel:DWORD dst_unused:UNUSED_PAD src0_sel:DWORD src1_sel:WORD_1
	v_fma_f16 v26, v39, -0.5, v26
	v_sub_f16_e32 v39, v78, v68
	v_mul_f16_sdwa v31, v31, v80 dst_sel:DWORD dst_unused:UNUSED_PAD src0_sel:DWORD src1_sel:WORD_1
	v_fma_f16 v32, v51, v47, -v32
	v_fma_f16 v47, v39, s1, v26
	v_fma_f16 v26, v39, s0, v26
	v_add_f16_e32 v39, v41, v78
	v_fma_f16 v31, v48, v80, -v31
	v_add_f16_e32 v48, v39, v68
	v_add_f16_e32 v39, v78, v68
	v_fma_f16 v39, v39, -0.5, v41
	v_sub_f16_e32 v41, v77, v57
	v_mul_f16_sdwa v30, v30, v64 dst_sel:DWORD dst_unused:UNUSED_PAD src0_sel:DWORD src1_sel:WORD_1
	v_fma_f16 v51, v41, s0, v39
	v_fma_f16 v57, v41, s1, v39
	v_add_f16_e32 v39, v75, v79
	v_fma_f16 v30, v73, v64, -v30
	v_add_f16_e32 v64, v39, v58
	v_add_f16_e32 v39, v79, v58
	v_fma_f16 v39, v39, -0.5, v75
	v_sub_f16_e32 v41, v55, v33
	v_fma_f16 v43, v41, s1, v39
	v_fma_f16 v68, v41, s0, v39
	v_add_f16_e32 v39, v76, v55
	v_add_f16_e32 v70, v39, v33
	;; [unrolled: 1-line block ×3, first 2 shown]
	v_fma_f16 v33, v33, -0.5, v76
	v_sub_f16_e32 v39, v79, v58
	v_fma_f16 v41, v39, s0, v33
	v_fma_f16 v33, v39, s1, v33
	v_mul_f16_e32 v39, 0xbaee, v41
	v_mul_f16_e32 v41, 0.5, v41
	v_fma_f16 v58, v43, 0.5, v39
	v_mul_f16_e32 v39, 0xbaee, v33
	v_fma_f16 v76, v43, s0, v41
	v_mul_f16_e32 v33, -0.5, v33
	v_add_f16_e32 v72, v47, v58
	v_add_f16_e32 v41, v51, v76
	v_fma_f16 v33, v68, s0, v33
	v_sub_f16_e32 v58, v47, v58
	v_sub_f16_e32 v47, v51, v76
	v_add_f16_e32 v51, v83, v56
	v_add_f16_e32 v55, v46, v64
	v_fma_f16 v73, v68, -0.5, v39
	v_add_f16_e32 v39, v48, v70
	v_add_f16_e32 v43, v57, v33
	v_sub_f16_e32 v64, v46, v64
	v_sub_f16_e32 v46, v48, v70
	;; [unrolled: 1-line block ×3, first 2 shown]
	v_add_f16_e32 v33, v23, v83
	v_fma_f16 v23, v51, -0.5, v23
	v_sub_f16_e32 v51, v60, v50
	v_fma_f16 v57, v51, s1, v23
	v_fma_f16 v23, v51, s0, v23
	v_add_f16_e32 v51, v59, v60
	v_add_f16_e32 v68, v51, v50
	;; [unrolled: 1-line block ×3, first 2 shown]
	v_fma_f16 v50, v50, -0.5, v59
	v_sub_f16_e32 v51, v83, v56
	v_add_f16_e32 v33, v33, v56
	v_fma_f16 v56, v51, s0, v50
	v_fma_f16 v59, v51, s1, v50
	v_add_f16_e32 v50, v81, v66
	v_add_f16_e32 v60, v50, v61
	;; [unrolled: 1-line block ×3, first 2 shown]
	v_fma_f16 v50, v50, -0.5, v81
	v_sub_f16_e32 v51, v49, v31
	v_fma_f16 v70, v51, s1, v50
	v_fma_f16 v51, v51, s0, v50
	v_add_f16_e32 v50, v82, v49
	v_add_f16_e32 v75, v26, v73
	v_sub_f16_e32 v26, v26, v73
	v_add_f16_e32 v73, v50, v31
	v_add_f16_e32 v31, v49, v31
	v_fma_f16 v31, v31, -0.5, v82
	v_sub_f16_e32 v49, v66, v61
	v_fma_f16 v50, v49, s0, v31
	v_fma_f16 v31, v49, s1, v31
	v_mul_f16_e32 v49, 0xbaee, v50
	v_fma_f16 v66, v70, 0.5, v49
	v_mul_f16_e32 v49, 0xbaee, v31
	v_mul_f16_e32 v31, -0.5, v31
	v_add_f16_e32 v76, v57, v66
	v_fma_f16 v31, v51, s0, v31
	v_sub_f16_e32 v57, v57, v66
	v_add_f16_e32 v66, v71, v53
	v_fma_f16 v77, v51, -0.5, v49
	v_add_f16_e32 v51, v59, v31
	v_sub_f16_e32 v59, v59, v31
	v_add_f16_e32 v31, v21, v71
	v_fma_f16 v21, v66, -0.5, v21
	v_sub_f16_e32 v66, v40, v54
	v_add_f16_e32 v61, v33, v60
	v_add_f16_e32 v49, v68, v73
	v_sub_f16_e32 v33, v33, v60
	v_sub_f16_e32 v60, v68, v73
	v_fma_f16 v68, v66, s1, v21
	v_fma_f16 v21, v66, s0, v21
	v_add_f16_e32 v66, v42, v40
	v_add_f16_e32 v40, v40, v54
	v_mul_f16_e32 v50, 0.5, v50
	v_add_f16_e32 v66, v66, v54
	v_fma_f16 v40, v40, -0.5, v42
	v_sub_f16_e32 v42, v71, v53
	v_add_f16_e32 v54, v52, v69
	v_fma_f16 v70, v70, s0, v50
	v_add_f16_e32 v31, v31, v53
	v_fma_f16 v53, v42, s0, v40
	v_fma_f16 v40, v42, s1, v40
	v_add_f16_e32 v42, v65, v52
	v_fma_f16 v54, v54, -0.5, v65
	v_sub_f16_e32 v65, v37, v32
	v_add_f16_e32 v50, v56, v70
	v_sub_f16_e32 v56, v56, v70
	v_fma_f16 v70, v65, s1, v54
	v_fma_f16 v54, v65, s0, v54
	v_add_f16_e32 v65, v67, v37
	v_add_f16_e32 v65, v65, v32
	;; [unrolled: 1-line block ×3, first 2 shown]
	v_fma_f16 v32, v32, -0.5, v67
	v_sub_f16_e32 v37, v52, v69
	v_fma_f16 v52, v37, s0, v32
	v_fma_f16 v32, v37, s1, v32
	v_mul_f16_e32 v67, 0xbaee, v52
	v_mul_f16_e32 v71, 0xbaee, v32
	v_mul_f16_e32 v32, -0.5, v32
	v_add_f16_e32 v42, v42, v69
	v_fma_f16 v67, v70, 0.5, v67
	v_fma_f16 v32, v54, s0, v32
	v_add_f16_e32 v37, v31, v42
	v_add_f16_e32 v69, v68, v67
	v_fma_f16 v71, v54, -0.5, v71
	v_mul_f16_e32 v52, 0.5, v52
	v_add_f16_e32 v54, v40, v32
	v_sub_f16_e32 v31, v31, v42
	v_sub_f16_e32 v42, v68, v67
	;; [unrolled: 1-line block ×3, first 2 shown]
	v_add_f16_e32 v40, v63, v45
	v_fma_f16 v52, v70, s0, v52
	v_add_f16_e32 v32, v18, v63
	v_fma_f16 v18, v40, -0.5, v18
	v_sub_f16_e32 v40, v34, v35
	v_add_f16_e32 v78, v23, v77
	v_sub_f16_e32 v23, v23, v77
	v_add_f16_e32 v77, v66, v65
	v_add_f16_e32 v70, v53, v52
	v_sub_f16_e32 v65, v66, v65
	v_sub_f16_e32 v66, v53, v52
	v_fma_f16 v52, v40, s1, v18
	v_fma_f16 v18, v40, s0, v18
	v_add_f16_e32 v40, v27, v34
	v_add_f16_e32 v34, v34, v35
	;; [unrolled: 1-line block ×3, first 2 shown]
	v_fma_f16 v27, v34, -0.5, v27
	v_sub_f16_e32 v34, v63, v45
	v_add_f16_e32 v45, v44, v62
	v_fma_f16 v45, v45, -0.5, v74
	v_sub_f16_e32 v53, v38, v30
	v_fma_f16 v63, v53, s1, v45
	v_fma_f16 v45, v53, s0, v45
	v_add_f16_e32 v53, v36, v38
	v_add_f16_e32 v53, v53, v30
	;; [unrolled: 1-line block ×3, first 2 shown]
	v_fma_f16 v30, v30, -0.5, v36
	v_sub_f16_e32 v36, v44, v62
	v_fma_f16 v38, v36, s0, v30
	v_fma_f16 v30, v36, s1, v30
	v_add_f16_e32 v73, v21, v71
	v_sub_f16_e32 v21, v21, v71
	v_add_f16_e32 v40, v40, v35
	v_fma_f16 v35, v34, s0, v27
	v_fma_f16 v27, v34, s1, v27
	v_add_f16_e32 v34, v74, v44
	v_mul_f16_e32 v44, 0xbaee, v38
	v_mul_f16_e32 v68, 0xbaee, v30
	v_add_f16_e32 v34, v34, v62
	v_fma_f16 v44, v63, 0.5, v44
	v_fma_f16 v68, v45, -0.5, v68
	v_mul_f16_e32 v38, 0.5, v38
	v_mul_f16_e32 v30, -0.5, v30
	s_barrier
	ds_write_b16 v3, v55
	ds_write_b16 v3, v72 offset:72
	ds_write_b16 v3, v75 offset:144
	ds_write_b16 v3, v64 offset:216
	ds_write_b16 v3, v58 offset:288
	ds_write_b16 v3, v26 offset:360
	ds_write_b16 v2, v61
	ds_write_b16 v2, v76 offset:72
	ds_write_b16 v2, v78 offset:144
	ds_write_b16 v2, v33 offset:216
	ds_write_b16 v2, v57 offset:288
	ds_write_b16 v2, v23 offset:360
	;; [unrolled: 6-line block ×3, first 2 shown]
	v_lshlrev_b32_e32 v21, 1, v29
	v_add_f16_e32 v36, v32, v34
	v_add_f16_e32 v71, v18, v68
	v_fma_f16 v38, v63, s0, v38
	v_fma_f16 v30, v45, s0, v30
	v_sub_f16_e32 v32, v32, v34
	v_sub_f16_e32 v34, v52, v44
	;; [unrolled: 1-line block ×3, first 2 shown]
	v_add3_u32 v24, 0, v20, v21
	v_add_f16_e32 v62, v52, v44
	v_add_f16_e32 v74, v40, v53
	;; [unrolled: 1-line block ×4, first 2 shown]
	v_sub_f16_e32 v68, v40, v53
	v_sub_f16_e32 v80, v35, v38
	;; [unrolled: 1-line block ×3, first 2 shown]
	ds_write_b16 v24, v36
	ds_write_b16 v24, v62 offset:72
	ds_write_b16 v24, v71 offset:144
	;; [unrolled: 1-line block ×5, first 2 shown]
	s_waitcnt lgkmcnt(0)
	s_barrier
	ds_read_u16 v35, v12 offset:5472
	ds_read_u16 v31, v12 offset:5760
	ds_read_u16 v22, v16
	ds_read_u16 v21, v17
	;; [unrolled: 1-line block ×3, first 2 shown]
	ds_read_u16 v45, v12 offset:1728
	ds_read_u16 v42, v12 offset:2016
	ds_read_u16 v38, v12 offset:2304
	ds_read_u16 v34, v12 offset:2592
	ds_read_u16 v30, v12 offset:2880
	ds_read_u16 v44, v12 offset:3744
	ds_read_u16 v40, v12 offset:4032
	ds_read_u16 v36, v12 offset:4320
	ds_read_u16 v33, v12 offset:4608
	ds_read_u16 v37, v12 offset:6048
	ds_read_u16 v32, v12 offset:6336
	v_lshl_add_u32 v18, v8, 1, 0
	ds_read_u16 v26, v15
	ds_read_u16 v20, v18
	ds_read_u16 v53, v12 offset:3456
	ds_read_u16 v29, v12 offset:3168
	;; [unrolled: 1-line block ×4, first 2 shown]
	ds_read_u16 v23, v14
	ds_read_u16 v27, v12 offset:6624
	s_waitcnt lgkmcnt(0)
	s_barrier
	ds_write_b16 v3, v39
	ds_write_b16 v3, v41 offset:72
	ds_write_b16 v3, v43 offset:144
	ds_write_b16 v3, v46 offset:216
	ds_write_b16 v3, v47 offset:288
	ds_write_b16 v3, v48 offset:360
	ds_write_b16 v2, v49
	ds_write_b16 v2, v50 offset:72
	ds_write_b16 v2, v51 offset:144
	ds_write_b16 v2, v60 offset:216
	ds_write_b16 v2, v56 offset:288
	ds_write_b16 v2, v59 offset:360
	;; [unrolled: 6-line block ×4, first 2 shown]
	v_mul_u32_u24_e32 v2, 3, v4
	s_movk_i32 s0, 0x48
	v_lshlrev_b32_e32 v19, 2, v2
	v_add_u32_e32 v2, 0xffffffb8, v4
	v_cmp_gt_u32_e64 s[0:1], s0, v4
	v_cndmask_b32_e64 v24, v2, v5, s[0:1]
	v_mov_b32_e32 v3, 0
	v_mul_i32_i24_e32 v2, 3, v24
	v_lshlrev_b64 v[49:50], 2, v[2:3]
	s_waitcnt lgkmcnt(0)
	s_barrier
	global_load_dwordx3 v[46:48], v19, s[8:9] offset:840
	v_mov_b32_e32 v2, s9
	v_add_co_u32_e64 v57, s[0:1], s8, v49
	v_addc_co_u32_e64 v58, s[0:1], v2, v50, s[0:1]
	v_lshrrev_b16_e32 v2, 3, v9
	v_mul_u32_u24_e32 v2, 0x12f7, v2
	v_lshrrev_b32_e32 v2, 17, v2
	global_load_dwordx3 v[49:51], v[57:58], off offset:840
	global_load_dwordx3 v[54:56], v19, s[8:9] offset:1704
	v_mul_lo_u16_e32 v2, 0xd8, v2
	v_sub_u16_e32 v2, v9, v2
	v_mul_u32_u24_e32 v39, 3, v2
	v_lshlrev_b32_e32 v39, 2, v39
	global_load_dwordx3 v[57:59], v39, s[8:9] offset:840
	v_lshrrev_b16_e32 v39, 3, v6
	v_mul_u32_u24_e32 v39, 0x12f7, v39
	v_lshrrev_b32_e32 v39, 17, v39
	v_mul_lo_u16_e32 v41, 0xd8, v39
	v_sub_u16_e32 v41, v6, v41
	v_mul_u32_u24_e32 v43, 3, v41
	v_lshlrev_b32_e32 v43, 2, v43
	global_load_dwordx3 v[60:62], v43, s[8:9] offset:840
	v_lshrrev_b16_e32 v43, 3, v8
	v_mul_u32_u24_e32 v43, 0x12f7, v43
	v_lshrrev_b32_e32 v43, 17, v43
	v_mul_lo_u16_e32 v43, 0xd8, v43
	v_sub_u16_e32 v43, v8, v43
	v_mul_u32_u24_e32 v63, 3, v43
	v_lshlrev_b32_e32 v63, 2, v63
	ds_read_u16 v66, v12 offset:5472
	ds_read_u16 v67, v12 offset:5760
	global_load_dwordx3 v[63:65], v63, s[8:9] offset:840
	ds_read_u16 v68, v12 offset:1728
	ds_read_u16 v69, v12 offset:2016
	;; [unrolled: 1-line block ×9, first 2 shown]
	s_movk_i32 s0, 0x47
	v_cmp_lt_u32_e64 s[0:1], s0, v4
	v_lshlrev_b32_e32 v24, 1, v24
	v_lshl_add_u32 v2, v2, 1, 0
	s_waitcnt vmcnt(5) lgkmcnt(8)
	v_mul_f16_sdwa v77, v68, v46 dst_sel:DWORD dst_unused:UNUSED_PAD src0_sel:DWORD src1_sel:WORD_1
	v_fma_f16 v77, v45, v46, v77
	v_mul_f16_sdwa v45, v45, v46 dst_sel:DWORD dst_unused:UNUSED_PAD src0_sel:DWORD src1_sel:WORD_1
	v_fma_f16 v45, v68, v46, -v45
	s_waitcnt lgkmcnt(3)
	v_mul_f16_sdwa v46, v73, v47 dst_sel:DWORD dst_unused:UNUSED_PAD src0_sel:DWORD src1_sel:WORD_1
	v_fma_f16 v46, v53, v47, v46
	v_mul_f16_sdwa v53, v53, v47 dst_sel:DWORD dst_unused:UNUSED_PAD src0_sel:DWORD src1_sel:WORD_1
	v_fma_f16 v47, v73, v47, -v53
	s_waitcnt lgkmcnt(1)
	v_mul_f16_sdwa v53, v75, v48 dst_sel:DWORD dst_unused:UNUSED_PAD src0_sel:DWORD src1_sel:WORD_1
	s_waitcnt vmcnt(4)
	v_mul_f16_sdwa v80, v69, v49 dst_sel:DWORD dst_unused:UNUSED_PAD src0_sel:DWORD src1_sel:WORD_1
	v_fma_f16 v53, v52, v48, v53
	v_mul_f16_sdwa v52, v52, v48 dst_sel:DWORD dst_unused:UNUSED_PAD src0_sel:DWORD src1_sel:WORD_1
	v_fma_f16 v80, v42, v49, v80
	v_mul_f16_sdwa v42, v42, v49 dst_sel:DWORD dst_unused:UNUSED_PAD src0_sel:DWORD src1_sel:WORD_1
	v_fma_f16 v48, v75, v48, -v52
	ds_read_u16 v52, v12 offset:3744
	ds_read_u16 v68, v12 offset:4032
	;; [unrolled: 1-line block ×4, first 2 shown]
	ds_read_u16 v78, v16
	ds_read_u16 v79, v17
	v_fma_f16 v42, v69, v49, -v42
	s_waitcnt lgkmcnt(5)
	v_mul_f16_sdwa v49, v52, v50 dst_sel:DWORD dst_unused:UNUSED_PAD src0_sel:DWORD src1_sel:WORD_1
	v_fma_f16 v49, v44, v50, v49
	v_mul_f16_sdwa v44, v44, v50 dst_sel:DWORD dst_unused:UNUSED_PAD src0_sel:DWORD src1_sel:WORD_1
	v_fma_f16 v44, v52, v50, -v44
	v_mul_f16_sdwa v50, v66, v51 dst_sel:DWORD dst_unused:UNUSED_PAD src0_sel:DWORD src1_sel:WORD_1
	v_fma_f16 v50, v35, v51, v50
	v_mul_f16_sdwa v35, v35, v51 dst_sel:DWORD dst_unused:UNUSED_PAD src0_sel:DWORD src1_sel:WORD_1
	v_fma_f16 v35, v66, v51, -v35
	s_waitcnt vmcnt(3)
	v_mul_f16_sdwa v66, v70, v54 dst_sel:DWORD dst_unused:UNUSED_PAD src0_sel:DWORD src1_sel:WORD_1
	v_fma_f16 v66, v38, v54, v66
	v_mul_f16_sdwa v38, v38, v54 dst_sel:DWORD dst_unused:UNUSED_PAD src0_sel:DWORD src1_sel:WORD_1
	ds_read_u16 v51, v12 offset:6048
	ds_read_u16 v52, v12 offset:6336
	v_fma_f16 v38, v70, v54, -v38
	s_waitcnt vmcnt(2)
	v_mul_f16_sdwa v70, v71, v57 dst_sel:DWORD dst_unused:UNUSED_PAD src0_sel:DWORD src1_sel:WORD_1
	v_fma_f16 v70, v34, v57, v70
	v_mul_f16_sdwa v34, v34, v57 dst_sel:DWORD dst_unused:UNUSED_PAD src0_sel:DWORD src1_sel:WORD_1
	v_fma_f16 v34, v71, v57, -v34
	s_waitcnt lgkmcnt(5)
	v_mul_f16_sdwa v57, v73, v58 dst_sel:DWORD dst_unused:UNUSED_PAD src0_sel:DWORD src1_sel:WORD_1
	v_fma_f16 v57, v36, v58, v57
	v_mul_f16_sdwa v36, v36, v58 dst_sel:DWORD dst_unused:UNUSED_PAD src0_sel:DWORD src1_sel:WORD_1
	v_fma_f16 v36, v73, v58, -v36
	s_waitcnt lgkmcnt(1)
	v_mul_f16_sdwa v58, v51, v59 dst_sel:DWORD dst_unused:UNUSED_PAD src0_sel:DWORD src1_sel:WORD_1
	v_fma_f16 v58, v37, v59, v58
	v_mul_f16_sdwa v37, v37, v59 dst_sel:DWORD dst_unused:UNUSED_PAD src0_sel:DWORD src1_sel:WORD_1
	v_mul_f16_sdwa v54, v68, v55 dst_sel:DWORD dst_unused:UNUSED_PAD src0_sel:DWORD src1_sel:WORD_1
	v_fma_f16 v37, v51, v59, -v37
	s_waitcnt vmcnt(1)
	v_mul_f16_sdwa v59, v72, v60 dst_sel:DWORD dst_unused:UNUSED_PAD src0_sel:DWORD src1_sel:WORD_1
	v_fma_f16 v54, v40, v55, v54
	v_mul_f16_sdwa v40, v40, v55 dst_sel:DWORD dst_unused:UNUSED_PAD src0_sel:DWORD src1_sel:WORD_1
	v_fma_f16 v59, v30, v60, v59
	v_mul_f16_sdwa v30, v30, v60 dst_sel:DWORD dst_unused:UNUSED_PAD src0_sel:DWORD src1_sel:WORD_1
	v_fma_f16 v40, v68, v55, -v40
	v_mul_f16_sdwa v55, v67, v56 dst_sel:DWORD dst_unused:UNUSED_PAD src0_sel:DWORD src1_sel:WORD_1
	v_fma_f16 v30, v72, v60, -v30
	v_mul_f16_sdwa v60, v75, v61 dst_sel:DWORD dst_unused:UNUSED_PAD src0_sel:DWORD src1_sel:WORD_1
	v_fma_f16 v55, v31, v56, v55
	v_mul_f16_sdwa v31, v31, v56 dst_sel:DWORD dst_unused:UNUSED_PAD src0_sel:DWORD src1_sel:WORD_1
	v_fma_f16 v60, v33, v61, v60
	v_mul_f16_sdwa v33, v33, v61 dst_sel:DWORD dst_unused:UNUSED_PAD src0_sel:DWORD src1_sel:WORD_1
	v_fma_f16 v31, v67, v56, -v31
	ds_read_u16 v56, v15
	ds_read_u16 v67, v18
	;; [unrolled: 1-line block ×3, first 2 shown]
	ds_read_u16 v69, v12 offset:6624
	v_fma_f16 v61, v75, v61, -v33
	s_waitcnt lgkmcnt(4)
	v_mul_f16_sdwa v33, v52, v62 dst_sel:DWORD dst_unused:UNUSED_PAD src0_sel:DWORD src1_sel:WORD_1
	ds_read_u16 v51, v12
	v_fma_f16 v71, v32, v62, v33
	v_mul_f16_sdwa v32, v32, v62 dst_sel:DWORD dst_unused:UNUSED_PAD src0_sel:DWORD src1_sel:WORD_1
	s_waitcnt vmcnt(0)
	v_mul_f16_sdwa v33, v74, v63 dst_sel:DWORD dst_unused:UNUSED_PAD src0_sel:DWORD src1_sel:WORD_1
	v_fma_f16 v32, v52, v62, -v32
	v_fma_f16 v52, v29, v63, v33
	v_mul_f16_sdwa v29, v29, v63 dst_sel:DWORD dst_unused:UNUSED_PAD src0_sel:DWORD src1_sel:WORD_1
	v_fma_f16 v62, v74, v63, -v29
	v_mul_f16_sdwa v29, v76, v64 dst_sel:DWORD dst_unused:UNUSED_PAD src0_sel:DWORD src1_sel:WORD_1
	v_fma_f16 v63, v28, v64, v29
	v_mul_f16_sdwa v28, v28, v64 dst_sel:DWORD dst_unused:UNUSED_PAD src0_sel:DWORD src1_sel:WORD_1
	v_fma_f16 v64, v76, v64, -v28
	s_waitcnt lgkmcnt(1)
	v_mul_f16_sdwa v28, v69, v65 dst_sel:DWORD dst_unused:UNUSED_PAD src0_sel:DWORD src1_sel:WORD_1
	v_fma_f16 v72, v27, v65, v28
	v_sub_f16_e32 v28, v25, v46
	s_waitcnt lgkmcnt(0)
	v_sub_f16_e32 v29, v51, v47
	v_sub_f16_e32 v46, v77, v53
	;; [unrolled: 1-line block ×3, first 2 shown]
	v_mul_f16_sdwa v27, v27, v65 dst_sel:DWORD dst_unused:UNUSED_PAD src0_sel:DWORD src1_sel:WORD_1
	v_fma_f16 v25, v25, 2.0, -v28
	v_fma_f16 v33, v51, 2.0, -v29
	;; [unrolled: 1-line block ×4, first 2 shown]
	v_fma_f16 v27, v69, v65, -v27
	v_sub_f16_e32 v48, v25, v48
	v_sub_f16_e32 v65, v33, v45
	v_fma_f16 v45, v25, 2.0, -v48
	v_fma_f16 v69, v33, 2.0, -v65
	v_add_f16_e32 v47, v28, v47
	v_sub_f16_e32 v25, v26, v49
	v_sub_f16_e32 v33, v80, v50
	;; [unrolled: 1-line block ×3, first 2 shown]
	v_fma_f16 v46, v28, 2.0, -v47
	v_sub_f16_e32 v28, v56, v44
	v_fma_f16 v26, v26, 2.0, -v25
	v_sub_f16_e32 v35, v42, v35
	v_fma_f16 v44, v80, 2.0, -v33
	v_fma_f16 v74, v29, 2.0, -v73
	;; [unrolled: 1-line block ×4, first 2 shown]
	v_sub_f16_e32 v44, v26, v44
	v_add_f16_e32 v50, v25, v35
	v_sub_f16_e32 v56, v29, v42
	v_fma_f16 v49, v26, 2.0, -v44
	v_sub_f16_e32 v76, v28, v33
	v_fma_f16 v51, v25, 2.0, -v50
	v_sub_f16_e32 v25, v22, v54
	v_sub_f16_e32 v26, v78, v40
	;; [unrolled: 1-line block ×4, first 2 shown]
	v_fma_f16 v75, v29, 2.0, -v56
	v_fma_f16 v77, v28, 2.0, -v76
	;; [unrolled: 1-line block ×6, first 2 shown]
	v_sub_f16_e32 v40, v22, v29
	v_sub_f16_e32 v29, v28, v33
	v_fma_f16 v33, v28, 2.0, -v29
	v_add_f16_e32 v53, v25, v31
	v_sub_f16_e32 v31, v26, v35
	v_sub_f16_e32 v28, v21, v57
	;; [unrolled: 1-line block ×5, first 2 shown]
	v_fma_f16 v54, v25, 2.0, -v53
	v_fma_f16 v35, v26, 2.0, -v31
	;; [unrolled: 1-line block ×6, first 2 shown]
	v_sub_f16_e32 v55, v21, v25
	v_sub_f16_e32 v25, v26, v34
	v_fma_f16 v37, v26, 2.0, -v25
	v_add_f16_e32 v57, v28, v42
	v_sub_f16_e32 v26, v36, v38
	v_sub_f16_e32 v38, v23, v60
	;; [unrolled: 1-line block ×5, first 2 shown]
	v_fma_f16 v23, v23, 2.0, -v38
	v_fma_f16 v34, v68, 2.0, -v42
	;; [unrolled: 1-line block ×4, first 2 shown]
	v_sub_f16_e32 v59, v23, v32
	v_sub_f16_e32 v32, v34, v30
	v_fma_f16 v58, v28, 2.0, -v57
	v_fma_f16 v28, v36, 2.0, -v26
	v_fma_f16 v36, v34, 2.0, -v32
	v_add_f16_e32 v30, v38, v61
	v_sub_f16_e32 v34, v42, v60
	v_sub_f16_e32 v61, v20, v63
	;; [unrolled: 1-line block ×5, first 2 shown]
	s_barrier
	ds_write_b16 v12, v45
	ds_write_b16 v12, v46 offset:432
	ds_write_b16 v12, v48 offset:864
	;; [unrolled: 1-line block ×3, first 2 shown]
	v_mov_b32_e32 v45, 0x6c0
	v_fma_f16 v60, v38, 2.0, -v30
	v_fma_f16 v38, v42, 2.0, -v34
	;; [unrolled: 1-line block ×6, first 2 shown]
	v_add_f16_e32 v27, v61, v27
	v_sub_f16_e32 v66, v63, v66
	v_cndmask_b32_e64 v45, 0, v45, s[0:1]
	v_fma_f16 v22, v22, 2.0, -v40
	v_fma_f16 v21, v21, 2.0, -v55
	v_sub_f16_e32 v62, v20, v42
	v_sub_f16_e32 v42, v64, v52
	v_fma_f16 v52, v61, 2.0, -v27
	v_fma_f16 v61, v63, 2.0, -v66
	v_add3_u32 v63, 0, v45, v24
	v_lshl_add_u32 v67, v4, 1, 0
	ds_write_b16 v63, v49
	ds_write_b16 v63, v51 offset:432
	ds_write_b16 v63, v44 offset:864
	;; [unrolled: 1-line block ×11, first 2 shown]
	v_mul_u32_u24_e32 v21, 0x6c0, v39
	v_lshlrev_b32_e32 v22, 1, v41
	v_fma_f16 v23, v23, 2.0, -v59
	v_fma_f16 v20, v20, 2.0, -v62
	v_add3_u32 v54, 0, v21, v22
	v_lshl_add_u32 v55, v43, 1, 0
	ds_write_b16 v54, v23
	ds_write_b16 v54, v60 offset:432
	ds_write_b16 v54, v59 offset:864
	;; [unrolled: 1-line block ×7, first 2 shown]
	s_waitcnt lgkmcnt(0)
	s_barrier
	ds_read_u16 v20, v12 offset:5472
	ds_read_u16 v30, v12 offset:5760
	ds_read_u16 v27, v16
	ds_read_u16 v43, v17
	;; [unrolled: 1-line block ×3, first 2 shown]
	ds_read_u16 v17, v12 offset:1728
	ds_read_u16 v21, v12 offset:2016
	;; [unrolled: 1-line block ×11, first 2 shown]
	ds_read_u16 v39, v15
	ds_read_u16 v15, v18
	ds_read_u16 v23, v12 offset:3456
	ds_read_u16 v24, v12 offset:3168
	;; [unrolled: 1-line block ×4, first 2 shown]
	ds_read_u16 v50, v14
	ds_read_u16 v52, v12 offset:6624
	v_fma_f16 v64, v64, 2.0, -v42
	s_waitcnt lgkmcnt(0)
	s_barrier
	ds_write_b16 v12, v69
	ds_write_b16 v12, v74 offset:432
	ds_write_b16 v12, v65 offset:864
	;; [unrolled: 1-line block ×3, first 2 shown]
	ds_write_b16 v63, v75
	ds_write_b16 v63, v77 offset:432
	ds_write_b16 v63, v56 offset:864
	;; [unrolled: 1-line block ×11, first 2 shown]
	ds_write_b16 v54, v36
	ds_write_b16 v54, v38 offset:432
	ds_write_b16 v54, v32 offset:864
	;; [unrolled: 1-line block ×7, first 2 shown]
	s_waitcnt lgkmcnt(0)
	s_barrier
	s_and_saveexec_b64 s[0:1], vcc
	s_cbranch_execz .LBB0_15
; %bb.14:
	v_mul_i32_i24_e32 v2, 3, v8
	v_lshlrev_b64 v[25:26], 2, v[2:3]
	v_mov_b32_e32 v28, s9
	v_add_co_u32_e32 v25, vcc, s8, v25
	v_addc_co_u32_e32 v26, vcc, v28, v26, vcc
	v_mul_i32_i24_e32 v2, 3, v6
	global_load_dwordx3 v[31:33], v[25:26], off offset:3432
	v_lshlrev_b64 v[25:26], 2, v[2:3]
	v_mul_i32_i24_e32 v2, 3, v9
	v_add_co_u32_e32 v25, vcc, s8, v25
	v_addc_co_u32_e32 v26, vcc, v28, v26, vcc
	global_load_dwordx3 v[34:36], v[25:26], off offset:3432
	v_mul_i32_i24_e32 v29, -10, v9
	v_lshlrev_b64 v[8:9], 2, v[2:3]
	v_mul_i32_i24_e32 v2, 3, v7
	v_add_co_u32_e32 v8, vcc, s8, v8
	v_addc_co_u32_e32 v9, vcc, v28, v9, vcc
	v_mul_i32_i24_e32 v26, -10, v7
	ds_read_u16 v18, v18
	ds_read_u16 v37, v14
	ds_read_u16 v38, v12 offset:5760
	ds_read_u16 v42, v12 offset:5472
	;; [unrolled: 1-line block ×10, first 2 shown]
	global_load_dwordx3 v[54:56], v[8:9], off offset:3432
	v_add_co_u32_e32 v8, vcc, s8, v19
	v_lshlrev_b64 v[6:7], 2, v[2:3]
	v_addc_co_u32_e32 v9, vcc, 0, v28, vcc
	ds_read_u16 v70, v12 offset:6624
	ds_read_u16 v71, v12 offset:6336
	ds_read_u16 v72, v12 offset:6048
	v_add_co_u32_e32 v6, vcc, s8, v6
	v_addc_co_u32_e32 v7, vcc, v28, v7, vcc
	global_load_dwordx3 v[57:59], v[8:9], off offset:3432
	global_load_dwordx3 v[60:62], v[6:7], off offset:3432
	v_mul_i32_i24_e32 v25, -10, v5
	v_add_u32_e32 v13, v13, v29
	v_add_u32_e32 v11, v11, v26
	;; [unrolled: 1-line block ×3, first 2 shown]
	ds_read_u16 v13, v13
	ds_read_u16 v11, v11
	;; [unrolled: 1-line block ×3, first 2 shown]
	s_waitcnt vmcnt(4) lgkmcnt(12)
	v_mul_f16_sdwa v2, v32, v14 dst_sel:DWORD dst_unused:UNUSED_PAD src0_sel:WORD_1 src1_sel:DWORD
	v_mul_f16_sdwa v6, v24, v31 dst_sel:DWORD dst_unused:UNUSED_PAD src0_sel:DWORD src1_sel:WORD_1
	v_mul_f16_sdwa v7, v52, v33 dst_sel:DWORD dst_unused:UNUSED_PAD src0_sel:DWORD src1_sel:WORD_1
	;; [unrolled: 1-line block ×3, first 2 shown]
	s_waitcnt lgkmcnt(8)
	v_mul_f16_sdwa v9, v67, v31 dst_sel:DWORD dst_unused:UNUSED_PAD src0_sel:DWORD src1_sel:WORD_1
	s_waitcnt lgkmcnt(5)
	v_mul_f16_sdwa v19, v70, v33 dst_sel:DWORD dst_unused:UNUSED_PAD src0_sel:DWORD src1_sel:WORD_1
	v_fma_f16 v2, v53, v32, v2
	v_fma_f16 v53, v31, v67, -v6
	v_fma_f16 v6, v33, v70, -v7
	;; [unrolled: 1-line block ×3, first 2 shown]
	v_fma_f16 v8, v24, v31, v9
	v_fma_f16 v9, v52, v33, v19
	s_waitcnt vmcnt(3)
	v_mul_f16_sdwa v14, v35, v64 dst_sel:DWORD dst_unused:UNUSED_PAD src0_sel:WORD_1 src1_sel:DWORD
	v_sub_f16_e32 v2, v15, v2
	v_sub_f16_e32 v31, v53, v6
	;; [unrolled: 1-line block ×4, first 2 shown]
	v_fma_f16 v14, v51, v35, v14
	v_add_f16_e32 v6, v2, v31
	v_sub_f16_e32 v7, v32, v9
	v_fma_f16 v33, v15, 2.0, -v2
	v_fma_f16 v8, v8, 2.0, -v9
	;; [unrolled: 1-line block ×3, first 2 shown]
	v_sub_f16_e32 v53, v50, v14
	v_fma_f16 v14, v2, 2.0, -v6
	v_mul_f16_sdwa v2, v51, v35 dst_sel:DWORD dst_unused:UNUSED_PAD src0_sel:DWORD src1_sel:WORD_1
	v_fma_f16 v2, v35, v64, -v2
	v_sub_f16_e32 v35, v37, v2
	v_mul_i32_i24_e32 v2, 3, v5
	v_lshlrev_b64 v[2:3], 2, v[2:3]
	v_sub_f16_e32 v8, v33, v8
	v_add_co_u32_e32 v2, vcc, s8, v2
	v_addc_co_u32_e32 v3, vcc, v28, v3, vcc
	v_fma_f16 v67, v18, 2.0, -v32
	v_fma_f16 v15, v32, 2.0, -v7
	;; [unrolled: 1-line block ×3, first 2 shown]
	global_load_dwordx3 v[31:33], v[2:3], off offset:3432
	v_mul_f16_sdwa v2, v68, v34 dst_sel:DWORD dst_unused:UNUSED_PAD src0_sel:DWORD src1_sel:WORD_1
	v_fma_f16 v3, v48, v34, v2
	s_waitcnt lgkmcnt(4)
	v_mul_f16_sdwa v2, v71, v36 dst_sel:DWORD dst_unused:UNUSED_PAD src0_sel:DWORD src1_sel:WORD_1
	v_mul_f16_sdwa v19, v48, v34 dst_sel:DWORD dst_unused:UNUSED_PAD src0_sel:DWORD src1_sel:WORD_1
	;; [unrolled: 1-line block ×3, first 2 shown]
	v_fma_f16 v2, v49, v36, v2
	v_fma_f16 v52, v34, v68, -v19
	v_fma_f16 v19, v36, v71, -v24
	v_sub_f16_e32 v5, v3, v2
	v_sub_f16_e32 v70, v52, v19
	;; [unrolled: 1-line block ×3, first 2 shown]
	v_fma_f16 v34, v50, 2.0, -v53
	v_fma_f16 v3, v3, 2.0, -v5
	;; [unrolled: 1-line block ×3, first 2 shown]
	v_sub_f16_e32 v5, v34, v3
	v_fma_f16 v3, v37, 2.0, -v35
	v_fma_f16 v35, v52, 2.0, -v70
	v_sub_f16_e32 v35, v3, v35
	v_fma_f16 v36, v3, 2.0, -v35
	ds_read_u16 v3, v12 offset:4032
	s_waitcnt vmcnt(3)
	v_mul_f16_sdwa v37, v55, v65 dst_sel:DWORD dst_unused:UNUSED_PAD src0_sel:WORD_1 src1_sel:DWORD
	v_mul_f16_sdwa v48, v45, v54 dst_sel:DWORD dst_unused:UNUSED_PAD src0_sel:DWORD src1_sel:WORD_1
	v_mul_f16_sdwa v50, v46, v56 dst_sel:DWORD dst_unused:UNUSED_PAD src0_sel:DWORD src1_sel:WORD_1
	;; [unrolled: 1-line block ×3, first 2 shown]
	v_fma_f16 v37, v47, v55, v37
	v_fma_f16 v48, v54, v69, -v48
	s_waitcnt lgkmcnt(4)
	v_fma_f16 v50, v56, v72, -v50
	v_mul_f16_sdwa v47, v47, v55 dst_sel:DWORD dst_unused:UNUSED_PAD src0_sel:DWORD src1_sel:WORD_1
	v_fma_f16 v45, v45, v54, v52
	v_mul_f16_sdwa v52, v72, v56 dst_sel:DWORD dst_unused:UNUSED_PAD src0_sel:DWORD src1_sel:WORD_1
	v_sub_f16_e32 v37, v43, v37
	ds_read_u16 v49, v12 offset:2304
	v_sub_f16_e32 v50, v48, v50
	v_fma_f16 v47, v55, v65, -v47
	v_fma_f16 v46, v46, v56, v52
	v_add_f16_e32 v29, v37, v50
	s_waitcnt lgkmcnt(4)
	v_sub_f16_e32 v47, v13, v47
	v_sub_f16_e32 v46, v45, v46
	;; [unrolled: 1-line block ×3, first 2 shown]
	v_add_f16_e32 v24, v53, v70
	v_fma_f16 v51, v37, 2.0, -v29
	v_sub_f16_e32 v52, v47, v46
	v_fma_f16 v37, v43, 2.0, -v37
	v_fma_f16 v43, v45, 2.0, -v46
	;; [unrolled: 1-line block ×3, first 2 shown]
	ds_read_u16 v50, v12 offset:2016
	v_fma_f16 v19, v67, 2.0, -v9
	v_fma_f16 v67, v53, 2.0, -v24
	;; [unrolled: 1-line block ×4, first 2 shown]
	s_waitcnt vmcnt(1) lgkmcnt(2)
	v_mul_f16_sdwa v47, v61, v3 dst_sel:DWORD dst_unused:UNUSED_PAD src0_sel:WORD_1 src1_sel:DWORD
	v_fma_f16 v47, v44, v61, v47
	v_mul_f16_sdwa v54, v30, v62 dst_sel:DWORD dst_unused:UNUSED_PAD src0_sel:DWORD src1_sel:WORD_1
	v_mul_f16_sdwa v44, v44, v61 dst_sel:DWORD dst_unused:UNUSED_PAD src0_sel:DWORD src1_sel:WORD_1
	v_sub_f16_e32 v45, v13, v45
	v_fma_f16 v54, v62, v38, -v54
	v_fma_f16 v3, v61, v3, -v44
	s_waitcnt lgkmcnt(1)
	v_mul_f16_sdwa v44, v49, v60 dst_sel:DWORD dst_unused:UNUSED_PAD src0_sel:DWORD src1_sel:WORD_1
	v_mul_f16_sdwa v38, v38, v62 dst_sel:DWORD dst_unused:UNUSED_PAD src0_sel:DWORD src1_sel:WORD_1
	v_fma_f16 v46, v13, 2.0, -v45
	ds_read_u16 v13, v12 offset:3744
	v_mul_f16_sdwa v48, v41, v60 dst_sel:DWORD dst_unused:UNUSED_PAD src0_sel:DWORD src1_sel:WORD_1
	v_fma_f16 v41, v41, v60, v44
	v_fma_f16 v30, v30, v62, v38
	v_fma_f16 v48, v60, v49, -v48
	v_sub_f16_e32 v3, v11, v3
	v_sub_f16_e32 v30, v41, v30
	;; [unrolled: 1-line block ×5, first 2 shown]
	v_fma_f16 v44, v3, 2.0, -v38
	v_fma_f16 v3, v11, 2.0, -v3
	;; [unrolled: 1-line block ×3, first 2 shown]
	ds_read_u16 v48, v12 offset:1728
	v_add_f16_e32 v26, v47, v54
	v_fma_f16 v30, v41, 2.0, -v30
	v_sub_f16_e32 v41, v3, v11
	v_fma_f16 v55, v47, 2.0, -v26
	v_fma_f16 v27, v27, 2.0, -v47
	;; [unrolled: 1-line block ×3, first 2 shown]
	s_waitcnt vmcnt(0) lgkmcnt(1)
	v_mul_f16_sdwa v3, v32, v13 dst_sel:DWORD dst_unused:UNUSED_PAD src0_sel:WORD_1 src1_sel:DWORD
	v_fma_f16 v3, v40, v32, v3
	v_mul_f16_sdwa v40, v40, v32 dst_sel:DWORD dst_unused:UNUSED_PAD src0_sel:DWORD src1_sel:WORD_1
	v_mul_f16_sdwa v11, v21, v31 dst_sel:DWORD dst_unused:UNUSED_PAD src0_sel:DWORD src1_sel:WORD_1
	;; [unrolled: 1-line block ×3, first 2 shown]
	v_fma_f16 v13, v32, v13, -v40
	v_mul_f16_sdwa v32, v50, v31 dst_sel:DWORD dst_unused:UNUSED_PAD src0_sel:DWORD src1_sel:WORD_1
	v_fma_f16 v11, v31, v50, -v11
	v_fma_f16 v49, v33, v42, -v49
	v_fma_f16 v21, v21, v31, v32
	v_mul_f16_sdwa v31, v42, v33 dst_sel:DWORD dst_unused:UNUSED_PAD src0_sel:DWORD src1_sel:WORD_1
	v_sub_f16_e32 v49, v11, v49
	v_sub_f16_e32 v13, v10, v13
	v_fma_f16 v20, v20, v33, v31
	v_sub_f16_e32 v3, v39, v3
	v_sub_f16_e32 v20, v21, v20
	v_fma_f16 v10, v10, 2.0, -v13
	v_fma_f16 v11, v11, 2.0, -v49
	v_add_f16_e32 v25, v3, v49
	v_sub_f16_e32 v31, v13, v20
	v_fma_f16 v20, v21, 2.0, -v20
	v_sub_f16_e32 v21, v10, v11
	v_fma_f16 v54, v3, 2.0, -v25
	v_fma_f16 v3, v39, 2.0, -v3
	;; [unrolled: 1-line block ×3, first 2 shown]
	v_mul_f16_sdwa v10, v17, v57 dst_sel:DWORD dst_unused:UNUSED_PAD src0_sel:DWORD src1_sel:WORD_1
	ds_read_u16 v12, v12
	v_fma_f16 v32, v13, 2.0, -v31
	s_waitcnt lgkmcnt(1)
	v_fma_f16 v13, v57, v48, -v10
	v_mul_f16_sdwa v10, v22, v59 dst_sel:DWORD dst_unused:UNUSED_PAD src0_sel:DWORD src1_sel:WORD_1
	v_fma_f16 v10, v59, v63, -v10
	v_sub_f16_e32 v20, v3, v20
	v_sub_f16_e32 v40, v13, v10
	v_mul_f16_sdwa v10, v23, v58 dst_sel:DWORD dst_unused:UNUSED_PAD src0_sel:DWORD src1_sel:WORD_1
	v_fma_f16 v33, v3, 2.0, -v20
	v_mul_f16_sdwa v3, v58, v66 dst_sel:DWORD dst_unused:UNUSED_PAD src0_sel:WORD_1 src1_sel:DWORD
	v_fma_f16 v10, v58, v66, -v10
	v_fma_f16 v3, v23, v58, v3
	s_waitcnt lgkmcnt(0)
	v_sub_f16_e32 v23, v12, v10
	v_mul_f16_sdwa v10, v48, v57 dst_sel:DWORD dst_unused:UNUSED_PAD src0_sel:DWORD src1_sel:WORD_1
	v_mul_f16_sdwa v11, v63, v59 dst_sel:DWORD dst_unused:UNUSED_PAD src0_sel:DWORD src1_sel:WORD_1
	v_sub_f16_e32 v3, v16, v3
	v_fma_f16 v10, v17, v57, v10
	v_fma_f16 v11, v22, v59, v11
	v_add_f16_e32 v42, v3, v40
	v_sub_f16_e32 v11, v10, v11
	v_fma_f16 v49, v3, 2.0, -v42
	v_sub_f16_e32 v17, v23, v11
	v_fma_f16 v16, v16, 2.0, -v3
	v_fma_f16 v3, v10, 2.0, -v11
	v_mad_u64_u32 v[10:11], s[0:1], s2, v4, 0
	v_sub_f16_e32 v48, v16, v3
	v_fma_f16 v22, v23, 2.0, -v17
	v_mov_b32_e32 v3, v11
	v_fma_f16 v23, v12, 2.0, -v23
	v_mad_u64_u32 v[11:12], s[0:1], s3, v4, v[3:4]
	v_fma_f16 v13, v13, 2.0, -v40
	v_sub_f16_e32 v40, v23, v13
	v_fma_f16 v3, v16, 2.0, -v48
	v_mov_b32_e32 v13, s13
	v_add_co_u32_e32 v16, vcc, s12, v0
	v_fma_f16 v12, v23, 2.0, -v40
	v_addc_co_u32_e32 v23, vcc, v13, v1, vcc
	v_add_u32_e32 v13, 0x360, v4
	v_lshlrev_b64 v[0:1], 2, v[10:11]
	v_mad_u64_u32 v[10:11], s[0:1], s2, v13, 0
	v_pack_b32_f16 v50, v3, v12
	v_add_u32_e32 v56, 0x6c0, v4
	v_mov_b32_e32 v3, v11
	v_mad_u64_u32 v[11:12], s[0:1], s3, v13, v[3:4]
	v_mad_u64_u32 v[12:13], s[0:1], s2, v56, 0
	v_add_co_u32_e32 v0, vcc, v16, v0
	v_addc_co_u32_e32 v1, vcc, v23, v1, vcc
	v_mov_b32_e32 v3, v13
	global_store_dword v[0:1], v50, off
	v_lshlrev_b64 v[0:1], 2, v[10:11]
	v_mad_u64_u32 v[10:11], s[0:1], s3, v56, v[3:4]
	v_add_co_u32_e32 v0, vcc, v16, v0
	v_addc_co_u32_e32 v1, vcc, v23, v1, vcc
	v_pack_b32_f16 v3, v49, v22
	global_store_dword v[0:1], v3, off
	v_mov_b32_e32 v13, v10
	v_add_u32_e32 v3, 0xa20, v4
	v_lshlrev_b64 v[0:1], 2, v[12:13]
	v_mad_u64_u32 v[10:11], s[0:1], s2, v3, 0
	v_add_co_u32_e32 v0, vcc, v16, v0
	v_addc_co_u32_e32 v1, vcc, v23, v1, vcc
	v_pack_b32_f16 v12, v48, v40
	global_store_dword v[0:1], v12, off
	v_mov_b32_e32 v0, v11
	v_add_u32_e32 v22, 0x90, v4
	v_mad_u64_u32 v[0:1], s[0:1], s3, v3, v[0:1]
	v_mad_u64_u32 v[12:13], s[0:1], s2, v22, 0
	v_mov_b32_e32 v11, v0
	v_lshlrev_b64 v[0:1], 2, v[10:11]
	v_mov_b32_e32 v3, v13
	v_mad_u64_u32 v[10:11], s[4:5], s3, v22, v[3:4]
	v_add_co_u32_e32 v0, vcc, v16, v0
	v_addc_co_u32_e32 v1, vcc, v23, v1, vcc
	v_pack_b32_f16 v3, v42, v17
	v_mov_b32_e32 v13, v10
	global_store_dword v[0:1], v3, off
	v_lshlrev_b64 v[0:1], 2, v[12:13]
	v_add_u32_e32 v12, 0x3f0, v4
	v_mad_u64_u32 v[10:11], s[4:5], s2, v12, 0
	v_add_u32_e32 v22, 0x750, v4
	v_add_co_u32_e32 v0, vcc, v16, v0
	v_mov_b32_e32 v3, v11
	v_mad_u64_u32 v[11:12], s[4:5], s3, v12, v[3:4]
	v_mad_u64_u32 v[12:13], s[4:5], s2, v22, 0
	v_addc_co_u32_e32 v1, vcc, v23, v1, vcc
	v_pack_b32_f16 v17, v33, v39
	v_mov_b32_e32 v3, v13
	global_store_dword v[0:1], v17, off
	v_lshlrev_b64 v[0:1], 2, v[10:11]
	v_mad_u64_u32 v[10:11], s[4:5], s3, v22, v[3:4]
	v_add_co_u32_e32 v0, vcc, v16, v0
	v_addc_co_u32_e32 v1, vcc, v23, v1, vcc
	v_pack_b32_f16 v3, v54, v32
	v_mov_b32_e32 v13, v10
	global_store_dword v[0:1], v3, off
	v_lshlrev_b64 v[0:1], 2, v[12:13]
	v_add_u32_e32 v12, 0xab0, v4
	v_add_u32_e32 v13, 0x120, v4
	v_mad_u64_u32 v[10:11], s[4:5], s2, v12, 0
	v_lshrrev_b32_e32 v3, 5, v13
	s_mov_b32 s1, 0x97b425f
	v_pack_b32_f16 v17, v20, v21
	v_mul_hi_u32 v20, v3, s1
	s_movk_i32 s0, 0xa20
	v_mov_b32_e32 v3, v11
	v_mad_u64_u32 v[11:12], s[4:5], s3, v12, v[3:4]
	v_mad_u32_u24 v20, v20, s0, v13
	v_mad_u64_u32 v[12:13], s[4:5], s2, v20, 0
	v_add_co_u32_e32 v0, vcc, v16, v0
	v_addc_co_u32_e32 v1, vcc, v23, v1, vcc
	v_mov_b32_e32 v3, v13
	global_store_dword v[0:1], v17, off
	v_lshlrev_b64 v[0:1], 2, v[10:11]
	v_mad_u64_u32 v[10:11], s[4:5], s3, v20, v[3:4]
	v_add_co_u32_e32 v0, vcc, v16, v0
	v_addc_co_u32_e32 v1, vcc, v23, v1, vcc
	v_pack_b32_f16 v3, v25, v31
	v_mov_b32_e32 v13, v10
	global_store_dword v[0:1], v3, off
	v_lshlrev_b64 v[0:1], 2, v[12:13]
	v_add_u32_e32 v12, 0x360, v20
	v_mad_u64_u32 v[10:11], s[4:5], s2, v12, 0
	v_add_u32_e32 v21, 0x6c0, v20
	v_sub_f16_e32 v30, v27, v30
	v_mov_b32_e32 v3, v11
	v_mad_u64_u32 v[11:12], s[4:5], s3, v12, v[3:4]
	v_mad_u64_u32 v[12:13], s[4:5], s2, v21, 0
	v_fma_f16 v27, v27, 2.0, -v30
	v_add_co_u32_e32 v0, vcc, v16, v0
	v_addc_co_u32_e32 v1, vcc, v23, v1, vcc
	v_pack_b32_f16 v17, v27, v47
	v_mov_b32_e32 v3, v13
	global_store_dword v[0:1], v17, off
	v_lshlrev_b64 v[0:1], 2, v[10:11]
	v_mad_u64_u32 v[10:11], s[4:5], s3, v21, v[3:4]
	v_add_co_u32_e32 v0, vcc, v16, v0
	v_addc_co_u32_e32 v1, vcc, v23, v1, vcc
	v_pack_b32_f16 v3, v55, v44
	v_mov_b32_e32 v13, v10
	global_store_dword v[0:1], v3, off
	v_lshlrev_b64 v[0:1], 2, v[12:13]
	v_add_u32_e32 v12, 0xa20, v20
	v_add_u32_e32 v13, 0x1b0, v4
	v_mad_u64_u32 v[10:11], s[4:5], s2, v12, 0
	v_lshrrev_b32_e32 v3, 5, v13
	v_mul_hi_u32 v20, v3, s1
	v_mov_b32_e32 v3, v11
	v_mad_u64_u32 v[11:12], s[4:5], s3, v12, v[3:4]
	v_mad_u32_u24 v20, v20, s0, v13
	v_mad_u64_u32 v[12:13], s[4:5], s2, v20, 0
	v_add_co_u32_e32 v0, vcc, v16, v0
	v_addc_co_u32_e32 v1, vcc, v23, v1, vcc
	v_pack_b32_f16 v17, v30, v41
	v_mov_b32_e32 v3, v13
	global_store_dword v[0:1], v17, off
	v_lshlrev_b64 v[0:1], 2, v[10:11]
	v_mad_u64_u32 v[10:11], s[4:5], s3, v20, v[3:4]
	v_add_co_u32_e32 v0, vcc, v16, v0
	v_addc_co_u32_e32 v1, vcc, v23, v1, vcc
	v_pack_b32_f16 v3, v26, v38
	v_mov_b32_e32 v13, v10
	global_store_dword v[0:1], v3, off
	v_lshlrev_b64 v[0:1], 2, v[12:13]
	v_add_u32_e32 v12, 0x360, v20
	v_mad_u64_u32 v[10:11], s[4:5], s2, v12, 0
	v_add_u32_e32 v21, 0x6c0, v20
	v_sub_f16_e32 v43, v37, v43
	v_mov_b32_e32 v3, v11
	v_mad_u64_u32 v[11:12], s[4:5], s3, v12, v[3:4]
	v_mad_u64_u32 v[12:13], s[4:5], s2, v21, 0
	v_fma_f16 v37, v37, 2.0, -v43
	v_add_co_u32_e32 v0, vcc, v16, v0
	v_addc_co_u32_e32 v1, vcc, v23, v1, vcc
	v_pack_b32_f16 v17, v37, v46
	v_mov_b32_e32 v3, v13
	global_store_dword v[0:1], v17, off
	v_lshlrev_b64 v[0:1], 2, v[10:11]
	v_mad_u64_u32 v[10:11], s[4:5], s3, v21, v[3:4]
	v_add_co_u32_e32 v0, vcc, v16, v0
	v_addc_co_u32_e32 v1, vcc, v23, v1, vcc
	v_pack_b32_f16 v3, v51, v53
	v_mov_b32_e32 v13, v10
	global_store_dword v[0:1], v3, off
	v_lshlrev_b64 v[0:1], 2, v[12:13]
	v_add_u32_e32 v12, 0xa20, v20
	v_add_u32_e32 v13, 0x240, v4
	v_mad_u64_u32 v[10:11], s[4:5], s2, v12, 0
	v_lshrrev_b32_e32 v3, 5, v13
	v_mul_hi_u32 v20, v3, s1
	v_mov_b32_e32 v3, v11
	v_mad_u64_u32 v[11:12], s[4:5], s3, v12, v[3:4]
	v_mad_u32_u24 v20, v20, s0, v13
	v_mad_u64_u32 v[12:13], s[4:5], s2, v20, 0
	v_add_co_u32_e32 v0, vcc, v16, v0
	v_addc_co_u32_e32 v1, vcc, v23, v1, vcc
	v_pack_b32_f16 v17, v43, v45
	v_mov_b32_e32 v3, v13
	global_store_dword v[0:1], v17, off
	v_lshlrev_b64 v[0:1], 2, v[10:11]
	v_mad_u64_u32 v[10:11], s[4:5], s3, v20, v[3:4]
	v_add_co_u32_e32 v0, vcc, v16, v0
	v_addc_co_u32_e32 v1, vcc, v23, v1, vcc
	v_pack_b32_f16 v3, v29, v52
	v_mov_b32_e32 v13, v10
	global_store_dword v[0:1], v3, off
	v_lshlrev_b64 v[0:1], 2, v[12:13]
	v_add_u32_e32 v12, 0x360, v20
	v_mad_u64_u32 v[10:11], s[4:5], s2, v12, 0
	v_add_u32_e32 v21, 0x6c0, v20
	v_fma_f16 v34, v34, 2.0, -v5
	v_mov_b32_e32 v3, v11
	v_mad_u64_u32 v[11:12], s[4:5], s3, v12, v[3:4]
	v_mad_u64_u32 v[12:13], s[4:5], s2, v21, 0
	v_add_co_u32_e32 v0, vcc, v16, v0
	v_addc_co_u32_e32 v1, vcc, v23, v1, vcc
	v_pack_b32_f16 v17, v34, v36
	v_mov_b32_e32 v3, v13
	global_store_dword v[0:1], v17, off
	v_lshlrev_b64 v[0:1], 2, v[10:11]
	v_mad_u64_u32 v[10:11], s[4:5], s3, v21, v[3:4]
	v_add_co_u32_e32 v0, vcc, v16, v0
	v_addc_co_u32_e32 v1, vcc, v23, v1, vcc
	v_pack_b32_f16 v3, v67, v28
	v_mov_b32_e32 v13, v10
	global_store_dword v[0:1], v3, off
	v_lshlrev_b64 v[0:1], 2, v[12:13]
	v_add_u32_e32 v12, 0xa20, v20
	v_mad_u64_u32 v[10:11], s[4:5], s2, v12, 0
	v_add_co_u32_e32 v0, vcc, v16, v0
	v_mov_b32_e32 v3, v11
	v_mad_u64_u32 v[11:12], s[4:5], s3, v12, v[3:4]
	v_add_u32_e32 v3, 0x2d0, v4
	v_lshrrev_b32_e32 v4, 5, v3
	v_mul_hi_u32 v4, v4, s1
	v_addc_co_u32_e32 v1, vcc, v23, v1, vcc
	v_pack_b32_f16 v5, v5, v35
	v_mad_u32_u24 v12, v4, s0, v3
	v_mad_u64_u32 v[3:4], s[0:1], s2, v12, 0
	v_pack_b32_f16 v13, v24, v2
	global_store_dword v[0:1], v5, off
	v_mov_b32_e32 v2, v4
	v_mad_u64_u32 v[4:5], s[0:1], s3, v12, v[2:3]
	v_add_u32_e32 v5, 0x360, v12
	v_lshlrev_b64 v[0:1], 2, v[10:11]
	v_mad_u64_u32 v[10:11], s[0:1], s2, v5, 0
	v_add_co_u32_e32 v0, vcc, v16, v0
	v_addc_co_u32_e32 v1, vcc, v23, v1, vcc
	v_mov_b32_e32 v2, v11
	global_store_dword v[0:1], v13, off
	v_lshlrev_b64 v[0:1], 2, v[3:4]
	v_mad_u64_u32 v[2:3], s[0:1], s3, v5, v[2:3]
	v_add_co_u32_e32 v0, vcc, v16, v0
	v_addc_co_u32_e32 v1, vcc, v23, v1, vcc
	v_pack_b32_f16 v3, v18, v19
	v_add_u32_e32 v4, 0x6c0, v12
	global_store_dword v[0:1], v3, off
	v_mov_b32_e32 v11, v2
	v_mad_u64_u32 v[2:3], s[0:1], s2, v4, 0
	v_lshlrev_b64 v[0:1], 2, v[10:11]
	v_add_u32_e32 v11, 0xa20, v12
	v_mad_u64_u32 v[3:4], s[0:1], s3, v4, v[3:4]
	v_mad_u64_u32 v[4:5], s[0:1], s2, v11, 0
	v_add_co_u32_e32 v0, vcc, v16, v0
	v_addc_co_u32_e32 v1, vcc, v23, v1, vcc
	v_pack_b32_f16 v10, v14, v15
	global_store_dword v[0:1], v10, off
	v_lshlrev_b64 v[0:1], 2, v[2:3]
	v_mov_b32_e32 v2, v5
	v_mad_u64_u32 v[2:3], s[0:1], s3, v11, v[2:3]
	v_add_co_u32_e32 v0, vcc, v16, v0
	v_addc_co_u32_e32 v1, vcc, v23, v1, vcc
	v_pack_b32_f16 v3, v8, v9
	v_mov_b32_e32 v5, v2
	global_store_dword v[0:1], v3, off
	v_lshlrev_b64 v[0:1], 2, v[4:5]
	v_pack_b32_f16 v2, v6, v7
	v_add_co_u32_e32 v0, vcc, v16, v0
	v_addc_co_u32_e32 v1, vcc, v23, v1, vcc
	global_store_dword v[0:1], v2, off
.LBB0_15:
	s_endpgm
	.section	.rodata,"a",@progbits
	.p2align	6, 0x0
	.amdhsa_kernel fft_rtc_back_len3456_factors_6_6_6_4_4_wgs_144_tpt_144_halfLds_half_ip_CI_sbrr_dirReg
		.amdhsa_group_segment_fixed_size 0
		.amdhsa_private_segment_fixed_size 0
		.amdhsa_kernarg_size 88
		.amdhsa_user_sgpr_count 6
		.amdhsa_user_sgpr_private_segment_buffer 1
		.amdhsa_user_sgpr_dispatch_ptr 0
		.amdhsa_user_sgpr_queue_ptr 0
		.amdhsa_user_sgpr_kernarg_segment_ptr 1
		.amdhsa_user_sgpr_dispatch_id 0
		.amdhsa_user_sgpr_flat_scratch_init 0
		.amdhsa_user_sgpr_private_segment_size 0
		.amdhsa_uses_dynamic_stack 0
		.amdhsa_system_sgpr_private_segment_wavefront_offset 0
		.amdhsa_system_sgpr_workgroup_id_x 1
		.amdhsa_system_sgpr_workgroup_id_y 0
		.amdhsa_system_sgpr_workgroup_id_z 0
		.amdhsa_system_sgpr_workgroup_info 0
		.amdhsa_system_vgpr_workitem_id 0
		.amdhsa_next_free_vgpr 84
		.amdhsa_next_free_sgpr 24
		.amdhsa_reserve_vcc 1
		.amdhsa_reserve_flat_scratch 0
		.amdhsa_float_round_mode_32 0
		.amdhsa_float_round_mode_16_64 0
		.amdhsa_float_denorm_mode_32 3
		.amdhsa_float_denorm_mode_16_64 3
		.amdhsa_dx10_clamp 1
		.amdhsa_ieee_mode 1
		.amdhsa_fp16_overflow 0
		.amdhsa_exception_fp_ieee_invalid_op 0
		.amdhsa_exception_fp_denorm_src 0
		.amdhsa_exception_fp_ieee_div_zero 0
		.amdhsa_exception_fp_ieee_overflow 0
		.amdhsa_exception_fp_ieee_underflow 0
		.amdhsa_exception_fp_ieee_inexact 0
		.amdhsa_exception_int_div_zero 0
	.end_amdhsa_kernel
	.text
.Lfunc_end0:
	.size	fft_rtc_back_len3456_factors_6_6_6_4_4_wgs_144_tpt_144_halfLds_half_ip_CI_sbrr_dirReg, .Lfunc_end0-fft_rtc_back_len3456_factors_6_6_6_4_4_wgs_144_tpt_144_halfLds_half_ip_CI_sbrr_dirReg
                                        ; -- End function
	.section	.AMDGPU.csdata,"",@progbits
; Kernel info:
; codeLenInByte = 15700
; NumSgprs: 28
; NumVgprs: 84
; ScratchSize: 0
; MemoryBound: 0
; FloatMode: 240
; IeeeMode: 1
; LDSByteSize: 0 bytes/workgroup (compile time only)
; SGPRBlocks: 3
; VGPRBlocks: 20
; NumSGPRsForWavesPerEU: 28
; NumVGPRsForWavesPerEU: 84
; Occupancy: 3
; WaveLimiterHint : 1
; COMPUTE_PGM_RSRC2:SCRATCH_EN: 0
; COMPUTE_PGM_RSRC2:USER_SGPR: 6
; COMPUTE_PGM_RSRC2:TRAP_HANDLER: 0
; COMPUTE_PGM_RSRC2:TGID_X_EN: 1
; COMPUTE_PGM_RSRC2:TGID_Y_EN: 0
; COMPUTE_PGM_RSRC2:TGID_Z_EN: 0
; COMPUTE_PGM_RSRC2:TIDIG_COMP_CNT: 0
	.type	__hip_cuid_4d49f8ef2cda25d5,@object ; @__hip_cuid_4d49f8ef2cda25d5
	.section	.bss,"aw",@nobits
	.globl	__hip_cuid_4d49f8ef2cda25d5
__hip_cuid_4d49f8ef2cda25d5:
	.byte	0                               ; 0x0
	.size	__hip_cuid_4d49f8ef2cda25d5, 1

	.ident	"AMD clang version 19.0.0git (https://github.com/RadeonOpenCompute/llvm-project roc-6.4.0 25133 c7fe45cf4b819c5991fe208aaa96edf142730f1d)"
	.section	".note.GNU-stack","",@progbits
	.addrsig
	.addrsig_sym __hip_cuid_4d49f8ef2cda25d5
	.amdgpu_metadata
---
amdhsa.kernels:
  - .args:
      - .actual_access:  read_only
        .address_space:  global
        .offset:         0
        .size:           8
        .value_kind:     global_buffer
      - .offset:         8
        .size:           8
        .value_kind:     by_value
      - .actual_access:  read_only
        .address_space:  global
        .offset:         16
        .size:           8
        .value_kind:     global_buffer
      - .actual_access:  read_only
        .address_space:  global
        .offset:         24
        .size:           8
        .value_kind:     global_buffer
      - .offset:         32
        .size:           8
        .value_kind:     by_value
      - .actual_access:  read_only
        .address_space:  global
        .offset:         40
        .size:           8
        .value_kind:     global_buffer
      - .actual_access:  read_only
        .address_space:  global
        .offset:         48
        .size:           8
        .value_kind:     global_buffer
      - .offset:         56
        .size:           4
        .value_kind:     by_value
      - .actual_access:  read_only
        .address_space:  global
        .offset:         64
        .size:           8
        .value_kind:     global_buffer
      - .actual_access:  read_only
        .address_space:  global
        .offset:         72
        .size:           8
        .value_kind:     global_buffer
      - .address_space:  global
        .offset:         80
        .size:           8
        .value_kind:     global_buffer
    .group_segment_fixed_size: 0
    .kernarg_segment_align: 8
    .kernarg_segment_size: 88
    .language:       OpenCL C
    .language_version:
      - 2
      - 0
    .max_flat_workgroup_size: 144
    .name:           fft_rtc_back_len3456_factors_6_6_6_4_4_wgs_144_tpt_144_halfLds_half_ip_CI_sbrr_dirReg
    .private_segment_fixed_size: 0
    .sgpr_count:     28
    .sgpr_spill_count: 0
    .symbol:         fft_rtc_back_len3456_factors_6_6_6_4_4_wgs_144_tpt_144_halfLds_half_ip_CI_sbrr_dirReg.kd
    .uniform_work_group_size: 1
    .uses_dynamic_stack: false
    .vgpr_count:     84
    .vgpr_spill_count: 0
    .wavefront_size: 64
amdhsa.target:   amdgcn-amd-amdhsa--gfx906
amdhsa.version:
  - 1
  - 2
...

	.end_amdgpu_metadata
